;; amdgpu-corpus repo=ROCm/aiter kind=harvested arch=n/a opt=n/a

/root/src/amdgpu-assembly/repos/ROCm__aiter/hsa/gfx942/pa/pa_fp16_pertokenFp8_gqa16_2tg_4w.co:	file format elf64-amdgpu

Disassembly of section .text:

0000000000002100 <_ZN5aiter32pa_fp16_pertokenFp8_gqa16_2tg_4wE>:
	s_and_b32 s1, s1, 0xffff                                   // 000000002100: 8601FF01 0000FFFF
	s_load_dwordx2 s[8:9], s[0:1], 0x0                         // 000000002108: C0060200 00000000
	s_load_dwordx2 s[12:13], s[0:1], 0x10                      // 000000002110: C0060300 00000010
	s_load_dwordx2 s[16:17], s[0:1], 0x20                      // 000000002118: C0060400 00000020
	s_load_dwordx2 s[20:21], s[0:1], 0x30                      // 000000002120: C0060500 00000030
	s_load_dwordx2 s[24:25], s[0:1], 0x40                      // 000000002128: C0060600 00000040
	s_load_dwordx2 s[28:29], s[0:1], 0x50                      // 000000002130: C0060700 00000050
	s_load_dwordx2 s[32:33], s[0:1], 0x60                      // 000000002138: C0060800 00000060
	s_load_dwordx2 s[36:37], s[0:1], 0x70                      // 000000002140: C0060900 00000070
	s_load_dword s64, s[0:1], 0x80                             // 000000002148: C0021000 00000080
	s_load_dword s65, s[0:1], 0x90                             // 000000002150: C0021040 00000090
	s_load_dword s66, s[0:1], 0xa0                             // 000000002158: C0021080 000000A0
	s_load_dword s74, s[0:1], 0xb0                             // 000000002160: C0021280 000000B0
	s_load_dword s68, s[0:1], 0xc0                             // 000000002168: C0021100 000000C0
	s_load_dword s69, s[0:1], 0xd0                             // 000000002170: C0021140 000000D0
	s_load_dword s77, s[0:1], 0xe0                             // 000000002178: C0021340 000000E0
	v_lshrrev_b32_e32 v1, 10, v0                               // 000000002180: 2002008A
	v_lshrrev_b32_e32 v2, 10, v1                               // 000000002184: 2004028A
	v_and_b32_e32 v2, 0x3ff, v2                                // 000000002188: 260404FF 000003FF
	v_and_b32_e32 v1, 0x3ff, v1                                // 000000002190: 260202FF 000003FF
	v_and_b32_e32 v0, 0x3ff, v0                                // 000000002198: 260000FF 000003FF
	v_lshrrev_b32_e32 v3, 6, v0                                // 0000000021A0: 20060086
	v_and_b32_e32 v0, 63, v0                                   // 0000000021A4: 260000BF
	s_mov_b32 s2, s2                                           // 0000000021A8: BE820002
	s_mov_b32 s3, s3                                           // 0000000021AC: BE830003
	s_mov_b32 s4, s4                                           // 0000000021B0: BE840004
	v_readfirstlane_b32 s7, v3                                 // 0000000021B4: 7E0E0503
	s_waitcnt lgkmcnt(0)                                       // 0000000021B8: BF8CC07F
	s_mul_i32 s67, 0x100, s77                                  // 0000000021BC: 92434DFF 00000100
	s_mul_i32 s76, 0x100, s77                                  // 0000000021C4: 924C4DFF 00000100
	s_mul_i32 s75, s66, s76                                    // 0000000021CC: 924B4C42
	s_mul_i32 s60, s3, 4                                       // 0000000021D0: 923C8403
	s_and_b32 s29, s29, 0xffff                                 // 0000000021D4: 861DFF1D 0000FFFF
	s_add_u32 s28, s60, s28                                    // 0000000021DC: 801C1C3C
	s_addc_u32 s29, 0, s29                                     // 0000000021E0: 821D1D80
	s_load_dword s72, s[28:29], 0x0                            // 0000000021E4: C002120E 00000000
	s_mov_b32 s10, s76                                         // 0000000021EC: BE8A004C
	s_mov_b32 s14, s67                                         // 0000000021F0: BE8E0043
	s_mul_i32 s60, 4, s65                                      // 0000000021F4: 923C4184
	s_mov_b32 s26, s60                                         // 0000000021F8: BE9A003C
	s_mov_b32 s34, 0x80000000                                  // 0000000021FC: BEA200FF 80000000
	s_mov_b32 s38, 0x80000000                                  // 000000002204: BEA600FF 80000000
	s_mov_b32 s18, 0x80000000                                  // 00000000220C: BE9200FF 80000000
	s_mov_b32 s22, 0x80000000                                  // 000000002214: BE9600FF 80000000
	s_mov_b32 s11, 0x20000                                     // 00000000221C: BE8B00FF 00020000
	s_mov_b32 s15, 0x20000                                     // 000000002224: BE8F00FF 00020000
	s_mov_b32 s19, 0x20000                                     // 00000000222C: BE9300FF 00020000
	s_mov_b32 s23, 0x20000                                     // 000000002234: BE9700FF 00020000
	s_mov_b32 s27, 0x20000                                     // 00000000223C: BE9B00FF 00020000
	s_mov_b32 s35, 0x20000                                     // 000000002244: BEA300FF 00020000
	s_mov_b32 s39, 0x20000                                     // 00000000224C: BEA700FF 00020000
	s_and_b32 s9, s9, 0xffff                                   // 000000002254: 8609FF09 0000FFFF
	s_and_b32 s13, s13, 0xffff                                 // 00000000225C: 860DFF0D 0000FFFF
	s_and_b32 s17, s17, 0xffff                                 // 000000002264: 8611FF11 0000FFFF
	s_and_b32 s21, s21, 0xffff                                 // 00000000226C: 8615FF15 0000FFFF
	s_and_b32 s25, s25, 0xffff                                 // 000000002274: 8619FF19 0000FFFF
	s_and_b32 s33, s33, 0xffff                                 // 00000000227C: 8621FF21 0000FFFF
	s_and_b32 s37, s37, 0xffff                                 // 000000002284: 8625FF25 0000FFFF
	s_or_b32 s9, s9, 0x40000                                   // 00000000228C: 8709FF09 00040000
	s_or_b32 s13, s13, 0x40000                                 // 000000002294: 870DFF0D 00040000
	s_or_b32 s17, s17, 0x40000                                 // 00000000229C: 8711FF11 00040000
	s_or_b32 s21, s21, 0x40000                                 // 0000000022A4: 8715FF15 00040000
	s_or_b32 s25, s25, 0x40000                                 // 0000000022AC: 8719FF19 00040000
	s_or_b32 s33, s33, 0x40000                                 // 0000000022B4: 8721FF21 00040000
	s_or_b32 s37, s37, 0x40000                                 // 0000000022BC: 8725FF25 00040000
	v_mov_b32_e32 v127, 0                                      // 0000000022C4: 7EFE0280
	s_mul_i32 s60, s3, s65                                     // 0000000022C8: 923C4103
	s_mul_i32 s60, s60, 4                                      // 0000000022CC: 923C843C
	s_add_u32 s24, s60, s24                                    // 0000000022D0: 8018183C
	s_addc_u32 s25, 0, s25                                     // 0000000022D4: 82191980
	s_mov_b32 s56, 64                                          // 0000000022D8: BEB800C0
	s_waitcnt lgkmcnt(0)                                       // 0000000022DC: BF8CC07F
	s_add_u32 s73, s72, 15                                     // 0000000022E0: 80498F48
	s_lshr_b32 s73, s73, 4                                     // 0000000022E4: 8F498449
	s_mul_i32 s60, s73, 4                                      // 0000000022E8: 923C8449
	s_mov_b32 s26, s60                                         // 0000000022EC: BE9A003C
	v_and_b32_e32 v39, 3, v0                                   // 0000000022F0: 264E0083
	v_cmp_eq_u32_e64 s[60:61], 0, v39                          // 0000000022F4: D0CA003C 00024E80
	v_and_b32_e32 v38, 12, v0                                  // 0000000022FC: 264C008C
	v_add_u32_e32 v1, s7, v38                                  // 000000002300: 68024C07
	v_cndmask_b32_e64 v1, 0, v1, s[60:61]                      // 000000002304: D1000001 00F20280
	v_and_b32_e32 v39, 3, v0                                   // 00000000230C: 264E0083
	v_cmp_eq_u32_e64 s[60:61], 1, v39                          // 000000002310: D0CA003C 00024E81
	v_lshrrev_b32_e32 v38, 4, v0                               // 000000002318: 204C0084
	v_and_b32_e32 v39, 12, v0                                  // 00000000231C: 264E008C
	v_add_u32_e32 v38, v39, v38                                // 000000002320: 684C4D27
	v_cndmask_b32_e64 v38, 0, v38, s[60:61]                    // 000000002324: D1000026 00F24C80
	v_add_u32_e32 v1, v1, v38                                  // 00000000232C: 68024D01
	v_lshlrev_b32_e32 v1, 2, v1                                // 000000002330: 24020282
	buffer_load_dword v16, v1, s[24:27], 0 offen               // 000000002334: E0501000 80061001
	v_add_u32_e32 v1, s56, v1                                  // 00000000233C: 68020238
	buffer_load_dword v17, v1, s[24:27], 0 offen               // 000000002340: E0501000 80061101
	s_cmp_le_u32 s73, 32                                       // 000000002348: BF0BA049
	s_cselect_b32 s56, 0, s56                                  // 00000000234C: 85383880
	s_mul_i32 s60, s2, s67                                     // 000000002350: 923C4302
	s_mul_i32 s61, s3, s74                                     // 000000002354: 923D4A03
	s_add_u32 s60, s60, s61                                    // 000000002358: 803C3D3C
	s_add_u32 s12, s60, s12                                    // 00000000235C: 800C0C3C
	s_addc_u32 s13, 0, s13                                     // 000000002360: 820D0D80
	s_mul_i32 s60, s7, 0x108                                   // 000000002364: 923CFF07 00000108
	s_add_u32 m0, 0, s60                                       // 00000000236C: 807C3C80
	s_mul_i32 s60, s7, 0x100                                   // 000000002370: 923CFF07 00000100
	v_lshlrev_b32_e32 v38, 2, v0                               // 000000002378: 244C0082
	v_add_u32_e64 v38, v38, s60                                // 00000000237C: D1340026 00007926
	buffer_load_dword v38, s[12:15], 0 offen lds               // 000000002384: E0511000 80030026
	s_mul_i32 s60, 4, 0x108                                    // 00000000238C: 923CFF84 00000108
	s_add_u32 m0, m0, s60                                      // 000000002394: 807C3C7C
	v_add_u32_e32 v38, 0x400, v38                              // 000000002398: 684C4CFF 00000400
	buffer_load_dword v38, s[12:15], 0 offen lds               // 0000000023A0: E0511000 80030026
	s_mul_i32 s60, 4, 0x108                                    // 0000000023A8: 923CFF84 00000108
	s_add_u32 m0, m0, s60                                      // 0000000023B0: 807C3C7C
	v_add_u32_e32 v38, 0x400, v38                              // 0000000023B4: 684C4CFF 00000400
	buffer_load_dword v38, s[12:15], 0 offen lds               // 0000000023BC: E0511000 80030026
	s_mul_i32 s60, 4, 0x108                                    // 0000000023C4: 923CFF84 00000108
	s_add_u32 m0, m0, s60                                      // 0000000023CC: 807C3C7C
	v_add_u32_e32 v38, 0x400, v38                              // 0000000023D0: 684C4CFF 00000400
	buffer_load_dword v38, s[12:15], 0 offen lds               // 0000000023D8: E0511000 80030026
	s_mul_i32 s60, 4, 0x108                                    // 0000000023E0: 923CFF84 00000108
	s_add_u32 m0, m0, s60                                      // 0000000023E8: 807C3C7C
	v_add_u32_e32 v38, 0x400, v38                              // 0000000023EC: 684C4CFF 00000400
	v_lshrrev_b32_e32 v38, 4, v0                               // 0000000023F4: 204C0084
	v_lshlrev_b32_e32 v38, 2, v38                              // 0000000023F8: 244C4C82
	v_and_b32_e32 v39, 3, v0                                   // 0000000023FC: 264E0083
	v_add_u32_e32 v38, v39, v38                                // 000000002400: 684C4D27
	v_lshlrev_b32_e32 v59, 2, v38                              // 000000002404: 24764C82
	v_mov_b32_e32 v60, v59                                     // 000000002408: 7E78033B
	s_mul_i32 s60, s2, 64                                      // 00000000240C: 923CC002
	s_add_u32 s32, s60, s32                                    // 000000002410: 8020203C
	s_addc_u32 s33, 0, s33                                     // 000000002414: 82212180
	s_add_u32 s36, s60, s36                                    // 000000002418: 8024243C
	s_addc_u32 s37, 0, s37                                     // 00000000241C: 82252580
	s_mul_i32 s60, s2, s76                                     // 000000002420: 923C4C02
	s_mul_i32 s61, s3, s75                                     // 000000002424: 923D4B03
	s_add_u32 s60, s60, s61                                    // 000000002428: 803C3D3C
	s_add_u32 s8, s60, s8                                      // 00000000242C: 8008083C
	s_addc_u32 s9, 0, s9                                       // 000000002430: 82090980
	s_mul_i32 s60, s7, 0x100                                   // 000000002434: 923CFF07 00000100
	v_lshlrev_b32_e32 v8, 2, v0                                // 00000000243C: 24100082
	v_add_u32_e64 v8, v8, s60                                  // 000000002440: D1340008 00007908
	s_mov_b32 s70, 0                                           // 000000002448: BEC60080
	s_and_b32 s71, s72, 0xffffff00                             // 00000000244C: 8647FF48 FFFFFF00
	s_mov_b32 s42, 0xff00ff00                                  // 000000002454: BEAA00FF FF00FF00
	s_mov_b32 s43, 0xff00ff00                                  // 00000000245C: BEAB00FF FF00FF00
	s_mov_b32 s44, 0xf0f0f0f0                                  // 000000002464: BEAC00FF F0F0F0F0
	s_mov_b32 s45, 0xf0f0f0f0                                  // 00000000246C: BEAD00FF F0F0F0F0
	s_mov_b32 s78, 0xff00ff                                    // 000000002474: BECE00FF 00FF00FF
	s_mov_b32 s79, 0xff00ff                                    // 00000000247C: BECF00FF 00FF00FF
	v_mul_i32_i24_e64 v63, 64, s66                             // 000000002484: D106003F 000084C0
	v_mov_b32_e32 v53, s68                                     // 00000000248C: 7E6A0244
	v_mov_b32_e32 v9, -1                                       // 000000002490: 7E1202C1
	s_mov_b32 s52, 0x7060302                                   // 000000002494: BEB400FF 07060302
	s_mov_b32 s53, 0x400                                       // 00000000249C: BEB500FF 00000400
	s_mov_b32 s54, 0x40100                                     // 0000000024A4: BEB600FF 00040100
	s_mov_b32 s55, 0x4020100                                   // 0000000024AC: BEB700FF 04020100
	v_mov_b32_dpp v9, v9 row_shl:8 row_mask:0xf bank_mask:0xf bound_ctrl:1// 0000000024B4: 7E1202FA FF090809
	s_mov_b32 s6, 0x3fb8aa3b                                   // 0000000024BC: BE8600FF 3FB8AA3B
	v_mov_b32_e32 v14, 0xff800000                              // 0000000024C4: 7E1C02FF FF800000
	v_mov_b32_e32 v54, 0xff800000                              // 0000000024CC: 7E6C02FF FF800000
	v_mov_b32_e32 v51, 0                                       // 0000000024D4: 7E660280
	v_mov_b32_e32 v44, 0                                       // 0000000024D8: 7E580280
	v_mov_b32_e32 v49, 0                                       // 0000000024DC: 7E620280
	v_mov_b32_e32 v19, 0xffff0000                              // 0000000024E0: 7E2602FF FFFF0000
	v_mov_b32_e32 v20, 0x7fff0000                              // 0000000024E8: 7E2802FF 7FFF0000
	v_mov_b32_e32 v21, 0x7fff                                  // 0000000024F0: 7E2A02FF 00007FFF
	v_add_u32_e32 v1, s56, v1                                  // 0000000024F8: 68020238
	v_and_b32_e32 v10, 15, v0                                  // 0000000024FC: 2614008F
	v_lshlrev_b32_e32 v10, 2, v10                              // 000000002500: 24141482
	v_lshlrev_b32_e32 v11, 2, v0                               // 000000002504: 24160082
	s_mul_i32 s60, 0x100, s7                                   // 000000002508: 923C07FF 00000100
	v_add_u32_e32 v11, s60, v11                                // 000000002510: 6816163C
	v_lshrrev_b32_e32 v38, 4, v0                               // 000000002514: 204C0084
	v_lshlrev_b32_e32 v39, 6, v38                              // 000000002518: 244E4C86
	v_and_b32_e32 v38, 15, v0                                  // 00000000251C: 264C008F
	v_lshlrev_b32_e32 v38, 1, v38                              // 000000002520: 244C4C81
	v_add_u32_e32 v39, v38, v39                                // 000000002524: 684E4F26
	v_lshlrev_b32_e32 v12, 2, v39                              // 000000002528: 24184E82
	v_lshrrev_b32_e32 v38, 5, v0                               // 00000000252C: 204C0085
	v_lshlrev_b32_e32 v39, 5, v38                              // 000000002530: 244E4C85
	v_and_b32_e32 v38, 31, v0                                  // 000000002534: 264C009F
	v_lshrrev_b32_e32 v40, 4, v38                              // 000000002538: 20504C84
	v_add_u32_e32 v39, v40, v39                                // 00000000253C: 684E4F28
	v_and_b32_e32 v38, 15, v0                                  // 000000002540: 264C008F
	v_lshlrev_b32_e32 v38, 1, v38                              // 000000002544: 244C4C81
	v_add_u32_e32 v39, v38, v39                                // 000000002548: 684E4F26
	v_lshlrev_b32_e32 v38, 2, v39                              // 00000000254C: 244C4E82
	s_mul_i32 s60, 0x100, s7                                   // 000000002550: 923C07FF 00000100
	v_add_u32_e64 v13, v38, s60                                // 000000002558: D134000D 00007926
	v_lshlrev_b32_e32 v6, 4, v0                                // 000000002560: 240C0084
	s_mul_i32 s60, s2, s69                                     // 000000002564: 923C4502
	s_add_u32 s16, s60, s16                                    // 000000002568: 8010103C
	s_addc_u32 s17, 0, s17                                     // 00000000256C: 82111180
	v_and_b32_e32 v38, 15, v0                                  // 000000002570: 264C008F
	v_lshlrev_b32_e32 v7, 4, v38                               // 000000002574: 240E4C84
	s_mul_i32 s61, s2, s69                                     // 000000002578: 923D4502
	s_mul_i32 s60, s7, 0x100                                   // 00000000257C: 923CFF07 00000100
	s_add_u32 s60, s60, s61                                    // 000000002584: 803C3D3C
	s_add_u32 s20, s60, s20                                    // 000000002588: 8014143C
	s_addc_u32 s21, 0, s21                                     // 00000000258C: 82151580
	s_waitcnt vmcnt(4)                                         // 000000002590: BF8C0F74
	v_mul_u32_u24_dpp v38, v16, v53 row_newbcast:0 row_mask:0xf bank_mask:0xf// 000000002594: 104C6AFA FF015010
	v_mul_u32_u24_dpp v39, v16, v53 row_newbcast:4 row_mask:0xf bank_mask:0xf// 00000000259C: 104E6AFA FF015410
	v_mul_u32_u24_dpp v40, v16, v53 row_newbcast:8 row_mask:0xf bank_mask:0xf// 0000000025A4: 10506AFA FF015810
	v_mul_u32_u24_dpp v41, v16, v53 row_newbcast:12 row_mask:0xf bank_mask:0xf// 0000000025AC: 10526AFA FF015C10
	v_add_u32_e32 v22, v38, v6                                 // 0000000025B4: 682C0D26
	v_add_u32_e32 v23, v39, v6                                 // 0000000025B8: 682E0D27
	v_add_u32_e32 v24, v40, v6                                 // 0000000025BC: 68300D28
	v_add_u32_e32 v25, v41, v6                                 // 0000000025C0: 68320D29
	v_mul_u32_u24_dpp v38, v16, v53 row_newbcast:1 row_mask:0xf bank_mask:0xf// 0000000025C4: 104C6AFA FF015110
	v_mul_u32_u24_dpp v39, v16, v53 row_newbcast:5 row_mask:0xf bank_mask:0xf// 0000000025CC: 104E6AFA FF015510
	v_mul_u32_u24_dpp v40, v16, v53 row_newbcast:9 row_mask:0xf bank_mask:0xf// 0000000025D4: 10506AFA FF015910
	v_mul_u32_u24_dpp v41, v16, v53 row_newbcast:13 row_mask:0xf bank_mask:0xf// 0000000025DC: 10526AFA FF015D10
	v_add_u32_e32 v30, v38, v7                                 // 0000000025E4: 683C0F26
	v_add_u32_e32 v31, v39, v7                                 // 0000000025E8: 683E0F27
	v_add_u32_e32 v32, v40, v7                                 // 0000000025EC: 68400F28
	v_add_u32_e32 v33, v41, v7                                 // 0000000025F0: 68420F29
	v_mul_u32_u24_dpp v38, v16, v63 quad_perm:[0,0,0,0] row_mask:0xf bank_mask:0xf// 0000000025F4: 104C7EFA FF000010
	v_add_u32_e32 v2, v38, v59                                 // 0000000025FC: 68047726
	v_mul_u32_u24_dpp v38, v16, v63 quad_perm:[0,0,0,0] row_mask:0xf bank_mask:0xf// 000000002600: 104C7EFA FF000010
	v_add_u32_e32 v55, v38, v60                                // 000000002608: 686E7926
	buffer_load_dword v46, v2, s[32:35], 0 offen               // 00000000260C: E0501000 80082E02
	buffer_load_dwordx4 v[128:131], v22, s[16:19], 0 offen     // 000000002614: E05C1000 80048016
	buffer_load_dwordx4 v[132:135], v22, s[16:19], 0 offen offset:1024// 00000000261C: E05C1400 80048416
	buffer_load_dwordx4 v[136:139], v23, s[16:19], 0 offen     // 000000002624: E05C1000 80048817
	buffer_load_dwordx4 v[140:143], v23, s[16:19], 0 offen offset:1024// 00000000262C: E05C1400 80048C17
	buffer_load_dwordx4 v[144:147], v24, s[16:19], 0 offen     // 000000002634: E05C1000 80049018
	buffer_load_dwordx4 v[148:151], v24, s[16:19], 0 offen offset:1024// 00000000263C: E05C1400 80049418
	buffer_load_dwordx4 v[152:155], v25, s[16:19], 0 offen     // 000000002644: E05C1000 80049819
	buffer_load_dwordx4 v[156:159], v25, s[16:19], 0 offen offset:1024// 00000000264C: E05C1400 80049C19
	buffer_load_dword v57, v55, s[36:39], 0 offen              // 000000002654: E0501000 80093937
	buffer_load_dwordx4 v[192:195], v30, s[20:23], 0 offen     // 00000000265C: E05C1000 8005C01E
	buffer_load_dwordx4 v[196:199], v31, s[20:23], 0 offen     // 000000002664: E05C1000 8005C41F
	buffer_load_dwordx4 v[200:203], v32, s[20:23], 0 offen     // 00000000266C: E05C1000 8005C820
	buffer_load_dwordx4 v[204:207], v33, s[20:23], 0 offen     // 000000002674: E05C1000 8005CC21
	buffer_load_dwordx4 v[208:211], v30, s[20:23], 0 offen offset:1024// 00000000267C: E05C1400 8005D01E
	buffer_load_dwordx4 v[212:215], v31, s[20:23], 0 offen offset:1024// 000000002684: E05C1400 8005D41F
	buffer_load_dwordx4 v[216:219], v32, s[20:23], 0 offen offset:1024// 00000000268C: E05C1400 8005D820
	buffer_load_dwordx4 v[220:223], v33, s[20:23], 0 offen offset:1024// 000000002694: E05C1400 8005DC21
	v_lshrrev_b32_e32 v38, 4, v0                               // 00000000269C: 204C0084
	v_lshlrev_b32_e32 v39, 1, v38                              // 0000000026A0: 244E4C81
	v_and_b32_e32 v38, 15, v0                                  // 0000000026A4: 264C008F
	v_mul_i32_i24_e32 v38, 0x42, v38                           // 0000000026A8: 0C4C4CFF 00000042
	v_add_u32_e32 v39, v38, v39                                // 0000000026B0: 684E4F26
	v_lshlrev_b32_e32 v4, 2, v39                               // 0000000026B4: 24084E82
	s_mul_i32 s60, s7, 32                                      // 0000000026B8: 923CA007
	v_add_u32_e32 v4, s60, v4                                  // 0000000026BC: 6808083C
	s_waitcnt vmcnt(16) lgkmcnt(0)                             // 0000000026C0: BF8C4070
	s_barrier                                                  // 0000000026C4: BF8A0000
	ds_read_b64 v[80:81], v4                                   // 0000000026C8: D8EC0000 50000004
	ds_read_b64 v[84:85], v4 offset:128                        // 0000000026D0: D8EC0080 54000004
	s_waitcnt lgkmcnt(0)                                       // 0000000026D8: BF8CC07F
	v_and_b32_e32 v38, 0xffff, v80                             // 0000000026DC: 264CA0FF 0000FFFF
	v_lshrrev_b32_e32 v39, 16, v80                             // 0000000026E4: 204EA090
	v_and_b32_e32 v40, 0xffff, v81                             // 0000000026E8: 2650A2FF 0000FFFF
	v_lshrrev_b32_e32 v41, 16, v81                             // 0000000026F0: 2052A290
	v_cvt_f32_f16_e32 v80, v38                                 // 0000000026F4: 7EA01726
	v_cvt_f32_f16_e32 v81, v39                                 // 0000000026F8: 7EA21727
	v_cvt_f32_f16_e32 v82, v40                                 // 0000000026FC: 7EA41728
	v_cvt_f32_f16_e32 v83, v41                                 // 000000002700: 7EA61729
	v_and_b32_e32 v38, 0xffff, v84                             // 000000002704: 264CA8FF 0000FFFF
	v_lshrrev_b32_e32 v39, 16, v84                             // 00000000270C: 204EA890
	v_and_b32_e32 v40, 0xffff, v85                             // 000000002710: 2650AAFF 0000FFFF
	v_lshrrev_b32_e32 v41, 16, v85                             // 000000002718: 2052AA90
	v_cvt_f32_f16_e32 v84, v38                                 // 00000000271C: 7EA81726
	v_cvt_f32_f16_e32 v85, v39                                 // 000000002720: 7EAA1727
	v_cvt_f32_f16_e32 v86, v40                                 // 000000002724: 7EAC1728
	v_cvt_f32_f16_e32 v87, v41                                 // 000000002728: 7EAE1729
	v_mov_b32_e32 v50, 0x358637bd                              // 00000000272C: 7E6402FF 358637BD
	v_max3_f32 v50, |v80|, |v81|, v50                          // 000000002734: D1D30332 04CAA350
	v_max3_f32 v50, |v82|, |v83|, v50                          // 00000000273C: D1D30332 04CAA752
	v_max3_f32 v50, |v84|, |v85|, v50                          // 000000002744: D1D30332 04CAAB54
	v_max3_f32 v50, |v86|, |v87|, v50                          // 00000000274C: D1D30332 04CAAF56
	ds_write_b32 v11, v50 offset:4224                          // 000000002754: D81A1080 0000320B
	s_waitcnt lgkmcnt(0)                                       // 00000000275C: BF8CC07F
	s_barrier                                                  // 000000002760: BF8A0000
	ds_read_b32 v64, v10 offset:4224                           // 000000002764: D86C1080 4000000A
	ds_read_b32 v65, v10 offset:4288                           // 00000000276C: D86C10C0 4100000A
	ds_read_b32 v66, v10 offset:4352                           // 000000002774: D86C1100 4200000A
	ds_read_b32 v67, v10 offset:4416                           // 00000000277C: D86C1140 4300000A
	ds_read_b32 v68, v10 offset:4480                           // 000000002784: D86C1180 4400000A
	ds_read_b32 v69, v10 offset:4544                           // 00000000278C: D86C11C0 4500000A
	ds_read_b32 v70, v10 offset:4608                           // 000000002794: D86C1200 4600000A
	ds_read_b32 v71, v10 offset:4672                           // 00000000279C: D86C1240 4700000A
	ds_read_b32 v72, v10 offset:4736                           // 0000000027A4: D86C1280 4800000A
	ds_read_b32 v73, v10 offset:4800                           // 0000000027AC: D86C12C0 4900000A
	ds_read_b32 v74, v10 offset:4864                           // 0000000027B4: D86C1300 4A00000A
	ds_read_b32 v75, v10 offset:4928                           // 0000000027BC: D86C1340 4B00000A
	ds_read_b32 v76, v10 offset:4992                           // 0000000027C4: D86C1380 4C00000A
	ds_read_b32 v77, v10 offset:5056                           // 0000000027CC: D86C13C0 4D00000A
	ds_read_b32 v78, v10 offset:5120                           // 0000000027D4: D86C1400 4E00000A
	ds_read_b32 v79, v10 offset:5184                           // 0000000027DC: D86C1440 4F00000A
	s_waitcnt lgkmcnt(0)                                       // 0000000027E4: BF8CC07F
	v_max3_f32 v50, |v64|, |v65|, v50                          // 0000000027E8: D1D30332 04CA8340
	v_max3_f32 v50, |v66|, |v67|, v50                          // 0000000027F0: D1D30332 04CA8742
	v_max3_f32 v50, |v68|, |v69|, v50                          // 0000000027F8: D1D30332 04CA8B44
	v_max3_f32 v50, |v70|, |v71|, v50                          // 000000002800: D1D30332 04CA8F46
	v_max3_f32 v50, |v72|, |v73|, v50                          // 000000002808: D1D30332 04CA9348
	v_max3_f32 v50, |v74|, |v75|, v50                          // 000000002810: D1D30332 04CA974A
	v_max3_f32 v50, |v76|, |v77|, v50                          // 000000002818: D1D30332 04CA9B4C
	v_max3_f32 v50, |v78|, |v79|, v50                          // 000000002820: D1D30332 04CA9F4E
	v_rcp_f32_e32 v50, v50                                     // 000000002828: 7E644532
	s_nop 1                                                    // 00000000282C: BF800001
	v_mul_f32_e32 v50, 0x43700000, v50                         // 000000002830: 0A6464FF 43700000
	v_mul_f32_e32 v80, v50, v80                                // 000000002838: 0AA0A132
	v_mul_f32_e32 v81, v50, v81                                // 00000000283C: 0AA2A332
	v_mul_f32_e32 v82, v50, v82                                // 000000002840: 0AA4A532
	v_mul_f32_e32 v83, v50, v83                                // 000000002844: 0AA6A732
	v_mul_f32_e32 v84, v50, v84                                // 000000002848: 0AA8A932
	v_mul_f32_e32 v85, v50, v85                                // 00000000284C: 0AAAAB32
	v_mul_f32_e32 v86, v50, v86                                // 000000002850: 0AACAD32
	v_mul_f32_e32 v87, v50, v87                                // 000000002854: 0AAEAF32
	v_rcp_f32_e32 v48, v50                                     // 000000002858: 7E604532
	v_cvt_pk_fp8_f32 v80, v80, v81                             // 00000000285C: D2A20050 0002A350
	v_cvt_pk_fp8_f32 v80, v82, v83 op_sel:[0,0,1]              // 000000002864: D2A24050 0002A752
	v_cvt_pk_fp8_f32 v81, v84, v85                             // 00000000286C: D2A20051 0002AB54
	v_cvt_pk_fp8_f32 v81, v86, v87 op_sel:[0,0,1]              // 000000002874: D2A24051 0002AF56
	ds_write_b32 v13, v80 offset:6272                          // 00000000287C: D81A1880 0000500D
	ds_write_b32 v13, v81 offset:7296                          // 000000002884: D81A1C80 0000510D
	s_waitcnt lgkmcnt(0)                                       // 00000000288C: BF8CC07F
	s_barrier                                                  // 000000002890: BF8A0000
	ds_read_b64 v[80:81], v12 offset:6272                      // 000000002894: D8EC1880 5000000C
	ds_read_b64 v[82:83], v12 offset:6400                      // 00000000289C: D8EC1900 5200000C
	ds_read_b64 v[84:85], v12 offset:7296                      // 0000000028A4: D8EC1C80 5400000C
	ds_read_b64 v[86:87], v12 offset:7424                      // 0000000028AC: D8EC1D00 5600000C
	v_mov_b32_e32 v112, 0                                      // 0000000028B4: 7EE00280
	v_mov_b32_e32 v113, 0                                      // 0000000028B8: 7EE20280
	v_mov_b32_e32 v114, 0                                      // 0000000028BC: 7EE40280
	v_mov_b32_e32 v115, 0                                      // 0000000028C0: 7EE60280
	v_mov_b32_e32 v116, 0                                      // 0000000028C4: 7EE80280
	v_mov_b32_e32 v117, 0                                      // 0000000028C8: 7EEA0280
	v_mov_b32_e32 v118, 0                                      // 0000000028CC: 7EEC0280
	v_mov_b32_e32 v119, 0                                      // 0000000028D0: 7EEE0280
	v_mov_b32_e32 v104, 0                                      // 0000000028D4: 7ED00280
	v_mov_b32_e32 v105, 0                                      // 0000000028D8: 7ED20280
	v_mov_b32_e32 v106, 0                                      // 0000000028DC: 7ED40280
	v_mov_b32_e32 v107, 0                                      // 0000000028E0: 7ED60280
	v_mov_b32_e32 v108, 0                                      // 0000000028E4: 7ED80280
	v_mov_b32_e32 v109, 0                                      // 0000000028E8: 7EDA0280
	v_mov_b32_e32 v110, 0                                      // 0000000028EC: 7EDC0280
	v_mov_b32_e32 v111, 0                                      // 0000000028F0: 7EDE0280
	s_waitcnt vmcnt(8) lgkmcnt(0)                              // 0000000028F4: BF8C0078
	s_barrier                                                  // 0000000028F8: BF8A0000
	s_cmp_lt_u32 s73, 16                                       // 0000000028FC: BF0A9049
	s_cbranch_scc1 label_0B38                                  // 000000002900: BF850937
	s_cmp_lt_i32 s7, 2                                         // 000000002904: BF048207
	s_cbranch_scc0 label_069F                                  // 000000002908: BF84049C

000000000000290c <label_0203>:
	s_waitcnt vmcnt(8) lgkmcnt(0)                              // 00000000290C: BF8C0078
	v_mul_u32_u24_dpp v38, v17, v53 row_newbcast:0 row_mask:0xf bank_mask:0xf// 000000002910: 104C6AFA FF015011
	v_mul_u32_u24_dpp v39, v17, v53 row_newbcast:4 row_mask:0xf bank_mask:0xf// 000000002918: 104E6AFA FF015411
	v_mul_u32_u24_dpp v40, v17, v53 row_newbcast:8 row_mask:0xf bank_mask:0xf// 000000002920: 10506AFA FF015811
	v_mul_u32_u24_dpp v41, v17, v53 row_newbcast:12 row_mask:0xf bank_mask:0xf// 000000002928: 10526AFA FF015C11
	v_add_u32_e32 v26, v38, v6                                 // 000000002930: 68340D26
	v_add_u32_e32 v27, v39, v6                                 // 000000002934: 68360D27
	v_add_u32_e32 v28, v40, v6                                 // 000000002938: 68380D28
	v_add_u32_e32 v29, v41, v6                                 // 00000000293C: 683A0D29
	v_mul_u32_u24_dpp v38, v17, v63 quad_perm:[0,0,0,0] row_mask:0xf bank_mask:0xf// 000000002940: 104C7EFA FF000011
	v_add_u32_e32 v3, v38, v59                                 // 000000002948: 68067726
	v_mul_u32_u24_dpp v38, v17, v63 quad_perm:[0,0,0,0] row_mask:0xf bank_mask:0xf// 00000000294C: 104C7EFA FF000011
	v_add_u32_e32 v56, v38, v60                                // 000000002954: 68707926
	v_mfma_f32_16x16x32_fp8_fp8 v[88:91], v[128:129], v[80:81], 0// 000000002958: D3F30058 0202A180
	v_mfma_f32_16x16x32_fp8_fp8 v[88:91], v[130:131], v[82:83], v[88:91]// 000000002960: D3F30058 0562A582
	buffer_load_dwordx4 v[160:163], v26, s[16:19], 0 offen     // 000000002968: E05C1000 8004A01A
	v_mfma_f32_16x16x32_fp8_fp8 v[88:91], v[132:133], v[84:85], v[88:91]// 000000002970: D3F30058 0562A984
	v_mfma_f32_16x16x32_fp8_fp8 v[88:91], v[134:135], v[86:87], v[88:91]// 000000002978: D3F30058 0562AD86
	buffer_load_dword v16, v1, s[24:27], 0 offen               // 000000002980: E0501000 80061001
	v_mfma_f32_16x16x32_fp8_fp8 v[92:95], v[136:137], v[80:81], 0// 000000002988: D3F3005C 0202A188
	v_mfma_f32_16x16x32_fp8_fp8 v[92:95], v[138:139], v[82:83], v[92:95]// 000000002990: D3F3005C 0572A58A
	buffer_load_dwordx4 v[164:167], v26, s[16:19], 0 offen offset:1024// 000000002998: E05C1400 8004A41A
	v_mfma_f32_16x16x32_fp8_fp8 v[92:95], v[140:141], v[84:85], v[92:95]// 0000000029A0: D3F3005C 0572A98C
	v_mfma_f32_16x16x32_fp8_fp8 v[92:95], v[142:143], v[86:87], v[92:95]// 0000000029A8: D3F3005C 0572AD8E
	v_mfma_f32_16x16x32_fp8_fp8 v[96:99], v[144:145], v[80:81], 0// 0000000029B0: D3F30060 0202A190
	v_mfma_f32_16x16x32_fp8_fp8 v[96:99], v[146:147], v[82:83], v[96:99]// 0000000029B8: D3F30060 0582A592
	buffer_load_dwordx4 v[168:171], v27, s[16:19], 0 offen     // 0000000029C0: E05C1000 8004A81B
	v_mfma_f32_16x16x32_fp8_fp8 v[96:99], v[148:149], v[84:85], v[96:99]// 0000000029C8: D3F30060 0582A994
	v_mfma_f32_16x16x32_fp8_fp8 v[96:99], v[150:151], v[86:87], v[96:99]// 0000000029D0: D3F30060 0582AD96
	v_mfma_f32_16x16x32_fp8_fp8 v[100:103], v[152:153], v[80:81], 0// 0000000029D8: D3F30064 0202A198
	v_mfma_f32_16x16x32_fp8_fp8 v[100:103], v[154:155], v[82:83], v[100:103]// 0000000029E0: D3F30064 0592A59A
	buffer_load_dwordx4 v[172:175], v27, s[16:19], 0 offen offset:1024// 0000000029E8: E05C1400 8004AC1B
	v_mfma_f32_16x16x32_fp8_fp8 v[100:103], v[156:157], v[84:85], v[100:103]// 0000000029F0: D3F30064 0592A99C
	v_mfma_f32_16x16x32_fp8_fp8 v[100:103], v[158:159], v[86:87], v[100:103]// 0000000029F8: D3F30064 0592AD9E
	buffer_load_dword v47, v3, s[32:35], 0 offen               // 000000002A00: E0501000 80082F03
	v_mov_b32_dpp v38, v46 row_shr:4 row_mask:0xf bank_mask:0xf// 000000002A08: 7E4C02FA FF01142E
	v_mov_b32_dpp v39, v46 row_shl:4 row_mask:0xf bank_mask:0xf// 000000002A10: 7E4E02FA FF01042E
	v_cndmask_b32_e64 v120, v46, v38, s[44:45]                 // 000000002A18: D1000078 00B24D2E
	v_cndmask_b32_e64 v121, v39, v46, s[44:45]                 // 000000002A20: D1000079 00B25D27
	v_mov_b32_dpp v38, v120 row_shr:8 row_mask:0xf bank_mask:0xf// 000000002A28: 7E4C02FA FF011878
	v_mov_b32_dpp v39, v120 row_shl:8 row_mask:0xf bank_mask:0xf// 000000002A30: 7E4E02FA FF010878
	v_mov_b32_dpp v40, v121 row_shr:8 row_mask:0xf bank_mask:0xf// 000000002A38: 7E5002FA FF011879
	v_mov_b32_dpp v41, v121 row_shl:8 row_mask:0xf bank_mask:0xf// 000000002A40: 7E5202FA FF010879
	v_mov_b32_e32 v42, v120                                    // 000000002A48: 7E540378
	v_mov_b32_e32 v43, v121                                    // 000000002A4C: 7E560379
	v_cndmask_b32_e64 v120, v42, v38, s[42:43]                 // 000000002A50: D1000078 00AA4D2A
	v_cndmask_b32_e64 v122, v42, v39, s[78:79]                 // 000000002A58: D100007A 013A4F2A
	v_cndmask_b32_e64 v121, v43, v40, s[42:43]                 // 000000002A60: D1000079 00AA512B
	v_cndmask_b32_e64 v123, v43, v41, s[78:79]                 // 000000002A68: D100007B 013A532B
	v_mov_b32_dpp v38, v57 row_shr:4 row_mask:0xf bank_mask:0xf// 000000002A70: 7E4C02FA FF011439
	v_mov_b32_dpp v39, v57 row_shl:4 row_mask:0xf bank_mask:0xf// 000000002A78: 7E4E02FA FF010439
	v_cndmask_b32_e64 v124, v57, v38, s[44:45]                 // 000000002A80: D100007C 00B24D39
	v_cndmask_b32_e64 v125, v39, v57, s[44:45]                 // 000000002A88: D100007D 00B27327
	v_mov_b32_dpp v38, v124 row_shr:8 row_mask:0xf bank_mask:0xf// 000000002A90: 7E4C02FA FF01187C
	v_mov_b32_dpp v39, v124 row_shl:8 row_mask:0xf bank_mask:0xf// 000000002A98: 7E4E02FA FF01087C
	v_mov_b32_dpp v40, v125 row_shr:8 row_mask:0xf bank_mask:0xf// 000000002AA0: 7E5002FA FF01187D
	v_mov_b32_dpp v41, v125 row_shl:8 row_mask:0xf bank_mask:0xf// 000000002AA8: 7E5202FA FF01087D
	v_mov_b32_e32 v42, v124                                    // 000000002AB0: 7E54037C
	v_mov_b32_e32 v43, v125                                    // 000000002AB4: 7E56037D
	v_cndmask_b32_e64 v124, v42, v38, s[42:43]                 // 000000002AB8: D100007C 00AA4D2A
	v_cndmask_b32_e64 v126, v42, v39, s[78:79]                 // 000000002AC0: D100007E 013A4F2A
	v_cndmask_b32_e64 v125, v43, v40, s[42:43]                 // 000000002AC8: D100007D 00AA512B
	v_cndmask_b32_e64 v127, v43, v41, s[78:79]                 // 000000002AD0: D100007F 013A532B
	buffer_load_dword v58, v56, s[36:39], 0 offen              // 000000002AD8: E0501000 80093A38
	v_mul_f32_e32 v88, v48, v88                                // 000000002AE0: 0AB0B130
	v_mul_f32_e32 v89, v48, v89                                // 000000002AE4: 0AB2B330
	v_mul_f32_e32 v90, v48, v90                                // 000000002AE8: 0AB4B530
	v_mul_f32_e32 v91, v48, v91                                // 000000002AEC: 0AB6B730
	v_mul_f32_e32 v92, v48, v92                                // 000000002AF0: 0AB8B930
	v_mul_f32_e32 v93, v48, v93                                // 000000002AF4: 0ABABB30
	v_mul_f32_e32 v94, v48, v94                                // 000000002AF8: 0ABCBD30
	v_mul_f32_e32 v95, v48, v95                                // 000000002AFC: 0ABEBF30
	v_mul_f32_e32 v96, v48, v96                                // 000000002B00: 0AC0C130
	v_mul_f32_e32 v97, v48, v97                                // 000000002B04: 0AC2C330
	v_mul_f32_e32 v98, v48, v98                                // 000000002B08: 0AC4C530
	v_mul_f32_e32 v99, v48, v99                                // 000000002B0C: 0AC6C730
	v_mul_f32_e32 v100, v48, v100                              // 000000002B10: 0AC8C930
	v_mul_f32_e32 v101, v48, v101                              // 000000002B14: 0ACACB30
	v_mul_f32_e32 v102, v48, v102                              // 000000002B18: 0ACCCD30
	v_mul_f32_e32 v103, v48, v103                              // 000000002B1C: 0ACECF30
	buffer_load_dwordx4 v[176:179], v28, s[16:19], 0 offen     // 000000002B20: E05C1000 8004B01C
	v_mul_f32_dpp v88, v120, v88 quad_perm:[0,0,0,0] row_mask:0xf bank_mask:0xf// 000000002B28: 0AB0B0FA FF000078
	v_mul_f32_dpp v89, v120, v89 quad_perm:[1,1,1,1] row_mask:0xf bank_mask:0xf// 000000002B30: 0AB2B2FA FF005578
	v_mul_f32_dpp v90, v120, v90 quad_perm:[2,2,2,2] row_mask:0xf bank_mask:0xf// 000000002B38: 0AB4B4FA FF00AA78
	v_mul_f32_dpp v91, v120, v91 quad_perm:[3,3,3,3] row_mask:0xf bank_mask:0xf// 000000002B40: 0AB6B6FA FF00FF78
	v_mul_f32_dpp v92, v121, v92 quad_perm:[0,0,0,0] row_mask:0xf bank_mask:0xf// 000000002B48: 0AB8B8FA FF000079
	v_mul_f32_dpp v93, v121, v93 quad_perm:[1,1,1,1] row_mask:0xf bank_mask:0xf// 000000002B50: 0ABABAFA FF005579
	v_mul_f32_dpp v94, v121, v94 quad_perm:[2,2,2,2] row_mask:0xf bank_mask:0xf// 000000002B58: 0ABCBCFA FF00AA79
	v_mul_f32_dpp v95, v121, v95 quad_perm:[3,3,3,3] row_mask:0xf bank_mask:0xf// 000000002B60: 0ABEBEFA FF00FF79
	v_mul_f32_dpp v96, v122, v96 quad_perm:[0,0,0,0] row_mask:0xf bank_mask:0xf// 000000002B68: 0AC0C0FA FF00007A
	v_mul_f32_dpp v97, v122, v97 quad_perm:[1,1,1,1] row_mask:0xf bank_mask:0xf// 000000002B70: 0AC2C2FA FF00557A
	v_mul_f32_dpp v98, v122, v98 quad_perm:[2,2,2,2] row_mask:0xf bank_mask:0xf// 000000002B78: 0AC4C4FA FF00AA7A
	v_mul_f32_dpp v99, v122, v99 quad_perm:[3,3,3,3] row_mask:0xf bank_mask:0xf// 000000002B80: 0AC6C6FA FF00FF7A
	v_mul_f32_dpp v100, v123, v100 quad_perm:[0,0,0,0] row_mask:0xf bank_mask:0xf// 000000002B88: 0AC8C8FA FF00007B
	v_mul_f32_dpp v101, v123, v101 quad_perm:[1,1,1,1] row_mask:0xf bank_mask:0xf// 000000002B90: 0ACACAFA FF00557B
	v_mul_f32_dpp v102, v123, v102 quad_perm:[2,2,2,2] row_mask:0xf bank_mask:0xf// 000000002B98: 0ACCCCFA FF00AA7B
	v_mul_f32_dpp v103, v123, v103 quad_perm:[3,3,3,3] row_mask:0xf bank_mask:0xf// 000000002BA0: 0ACECEFA FF00FF7B
	buffer_load_dwordx4 v[180:183], v28, s[16:19], 0 offen offset:1024// 000000002BA8: E05C1400 8004B41C
	v_mov_b32_e32 v50, v88                                     // 000000002BB0: 7E640358
	v_max3_f32 v50, v88, v89, v50                              // 000000002BB4: D1D30032 04CAB358
	v_max3_f32 v50, v90, v91, v50                              // 000000002BBC: D1D30032 04CAB75A
	v_max3_f32 v50, v92, v93, v50                              // 000000002BC4: D1D30032 04CABB5C
	v_max3_f32 v50, v94, v95, v50                              // 000000002BCC: D1D30032 04CABF5E
	v_max3_f32 v50, v96, v97, v50                              // 000000002BD4: D1D30032 04CAC360
	v_max3_f32 v50, v98, v99, v50                              // 000000002BDC: D1D30032 04CAC762
	v_max3_f32 v50, v100, v101, v50                            // 000000002BE4: D1D30032 04CACB64
	v_max3_f32 v50, v102, v103, v50                            // 000000002BEC: D1D30032 04CACF66
	ds_write_b32 v11, v50 offset:4224                          // 000000002BF4: D81A1080 0000320B
	buffer_load_dwordx4 v[184:187], v29, s[16:19], 0 offen     // 000000002BFC: E05C1000 8004B81D
	v_mul_u32_u24_dpp v38, v17, v53 row_newbcast:1 row_mask:0xf bank_mask:0xf// 000000002C04: 104C6AFA FF015111
	v_mul_u32_u24_dpp v39, v17, v53 row_newbcast:5 row_mask:0xf bank_mask:0xf// 000000002C0C: 104E6AFA FF015511
	v_mul_u32_u24_dpp v40, v17, v53 row_newbcast:9 row_mask:0xf bank_mask:0xf// 000000002C14: 10506AFA FF015911
	v_mul_u32_u24_dpp v41, v17, v53 row_newbcast:13 row_mask:0xf bank_mask:0xf// 000000002C1C: 10526AFA FF015D11
	v_add_u32_e32 v34, v38, v7                                 // 000000002C24: 68440F26
	v_add_u32_e32 v35, v39, v7                                 // 000000002C28: 68460F27
	v_add_u32_e32 v36, v40, v7                                 // 000000002C2C: 68480F28
	v_add_u32_e32 v37, v41, v7                                 // 000000002C30: 684A0F29
	s_waitcnt lgkmcnt(0)                                       // 000000002C34: BF8CC07F
	s_barrier                                                  // 000000002C38: BF8A0000
	ds_read_b32 v64, v10 offset:4224                           // 000000002C3C: D86C1080 4000000A
	ds_read_b32 v65, v10 offset:4288                           // 000000002C44: D86C10C0 4100000A
	ds_read_b32 v66, v10 offset:4352                           // 000000002C4C: D86C1100 4200000A
	ds_read_b32 v67, v10 offset:4416                           // 000000002C54: D86C1140 4300000A
	ds_read_b32 v68, v10 offset:4480                           // 000000002C5C: D86C1180 4400000A
	ds_read_b32 v69, v10 offset:4544                           // 000000002C64: D86C11C0 4500000A
	ds_read_b32 v70, v10 offset:4608                           // 000000002C6C: D86C1200 4600000A
	ds_read_b32 v71, v10 offset:4672                           // 000000002C74: D86C1240 4700000A
	ds_read_b32 v72, v10 offset:4736                           // 000000002C7C: D86C1280 4800000A
	ds_read_b32 v73, v10 offset:4800                           // 000000002C84: D86C12C0 4900000A
	ds_read_b32 v74, v10 offset:4864                           // 000000002C8C: D86C1300 4A00000A
	ds_read_b32 v75, v10 offset:4928                           // 000000002C94: D86C1340 4B00000A
	ds_read_b32 v76, v10 offset:4992                           // 000000002C9C: D86C1380 4C00000A
	ds_read_b32 v77, v10 offset:5056                           // 000000002CA4: D86C13C0 4D00000A
	ds_read_b32 v78, v10 offset:5120                           // 000000002CAC: D86C1400 4E00000A
	ds_read_b32 v79, v10 offset:5184                           // 000000002CB4: D86C1440 4F00000A
	buffer_load_dwordx4 v[188:191], v29, s[16:19], 0 offen offset:1024// 000000002CBC: E05C1400 8004BC1D
	v_mul_f32_e32 v112, v51, v112                              // 000000002CC4: 0AE0E133
	v_mul_f32_e32 v113, v51, v113                              // 000000002CC8: 0AE2E333
	v_mul_f32_e32 v114, v51, v114                              // 000000002CCC: 0AE4E533
	v_mul_f32_e32 v115, v51, v115                              // 000000002CD0: 0AE6E733
	v_mul_f32_e32 v116, v51, v116                              // 000000002CD4: 0AE8E933
	v_mul_f32_e32 v117, v51, v117                              // 000000002CD8: 0AEAEB33
	v_mul_f32_e32 v118, v51, v118                              // 000000002CDC: 0AECED33
	v_mul_f32_e32 v119, v51, v119                              // 000000002CE0: 0AEEEF33
	s_waitcnt lgkmcnt(0)                                       // 000000002CE4: BF8CC07F
	v_max3_f32 v50, v64, v65, v50                              // 000000002CE8: D1D30032 04CA8340
	v_max3_f32 v50, v66, v67, v50                              // 000000002CF0: D1D30032 04CA8742
	v_max3_f32 v50, v68, v69, v50                              // 000000002CF8: D1D30032 04CA8B44
	v_max3_f32 v50, v70, v71, v50                              // 000000002D00: D1D30032 04CA8F46
	v_max3_f32 v50, v72, v73, v50                              // 000000002D08: D1D30032 04CA9348
	v_max3_f32 v50, v74, v75, v50                              // 000000002D10: D1D30032 04CA974A
	v_max3_f32 v50, v76, v77, v50                              // 000000002D18: D1D30032 04CA9B4C
	v_max3_f32 v50, v78, v79, v50                              // 000000002D20: D1D30032 04CA9F4E
	buffer_load_dwordx4 v[224:227], v34, s[20:23], 0 offen     // 000000002D28: E05C1000 8005E022
	v_cmp_eq_u32_e64 s[40:41], v54, v14                        // 000000002D30: D0CA0028 00021D36
	s_nop 1                                                    // 000000002D38: BF800001
	v_max_f32_e32 v15, v50, v14                                // 000000002D3C: 161E1D32
	v_mul_f32_e32 v52, s64, v15                                // 000000002D40: 0A681E40
	v_fma_f32 v88, v88, s64, -v52                              // 000000002D44: D1CB0058 84D08158
	v_fma_f32 v89, v89, s64, -v52                              // 000000002D4C: D1CB0059 84D08159
	v_fma_f32 v90, v90, s64, -v52                              // 000000002D54: D1CB005A 84D0815A
	v_fma_f32 v91, v91, s64, -v52                              // 000000002D5C: D1CB005B 84D0815B
	v_fma_f32 v92, v92, s64, -v52                              // 000000002D64: D1CB005C 84D0815C
	v_fma_f32 v93, v93, s64, -v52                              // 000000002D6C: D1CB005D 84D0815D
	v_fma_f32 v94, v94, s64, -v52                              // 000000002D74: D1CB005E 84D0815E
	v_fma_f32 v95, v95, s64, -v52                              // 000000002D7C: D1CB005F 84D0815F
	v_fma_f32 v96, v96, s64, -v52                              // 000000002D84: D1CB0060 84D08160
	v_fma_f32 v97, v97, s64, -v52                              // 000000002D8C: D1CB0061 84D08161
	v_fma_f32 v98, v98, s64, -v52                              // 000000002D94: D1CB0062 84D08162
	v_fma_f32 v99, v99, s64, -v52                              // 000000002D9C: D1CB0063 84D08163
	v_fma_f32 v100, v100, s64, -v52                            // 000000002DA4: D1CB0064 84D08164
	v_fma_f32 v101, v101, s64, -v52                            // 000000002DAC: D1CB0065 84D08165
	v_fma_f32 v102, v102, s64, -v52                            // 000000002DB4: D1CB0066 84D08166
	v_fma_f32 v103, v103, s64, -v52                            // 000000002DBC: D1CB0067 84D08167
	buffer_load_dwordx4 v[228:231], v35, s[20:23], 0 offen     // 000000002DC4: E05C1000 8005E423
	v_exp_f32_e32 v88, v88                                     // 000000002DCC: 7EB04158
	v_exp_f32_e32 v89, v89                                     // 000000002DD0: 7EB24159
	v_exp_f32_e32 v90, v90                                     // 000000002DD4: 7EB4415A
	v_exp_f32_e32 v91, v91                                     // 000000002DD8: 7EB6415B
	v_exp_f32_e32 v92, v92                                     // 000000002DDC: 7EB8415C
	v_exp_f32_e32 v93, v93                                     // 000000002DE0: 7EBA415D
	v_exp_f32_e32 v94, v94                                     // 000000002DE4: 7EBC415E
	v_exp_f32_e32 v95, v95                                     // 000000002DE8: 7EBE415F
	v_exp_f32_e32 v96, v96                                     // 000000002DEC: 7EC04160
	v_exp_f32_e32 v97, v97                                     // 000000002DF0: 7EC24161
	v_exp_f32_e32 v98, v98                                     // 000000002DF4: 7EC44162
	v_exp_f32_e32 v99, v99                                     // 000000002DF8: 7EC64163
	v_exp_f32_e32 v100, v100                                   // 000000002DFC: 7EC84164
	v_exp_f32_e32 v101, v101                                   // 000000002E00: 7ECA4165
	v_exp_f32_e32 v102, v102                                   // 000000002E04: 7ECC4166
	v_exp_f32_e32 v103, v103                                   // 000000002E08: 7ECE4167
	buffer_load_dwordx4 v[232:235], v36, s[20:23], 0 offen     // 000000002E0C: E05C1000 8005E824
	v_mul_f32_dpp v128, v124, v88 quad_perm:[0,0,0,0] row_mask:0xf bank_mask:0xf// 000000002E14: 0B00B0FA FF00007C
	v_mul_f32_dpp v129, v124, v89 quad_perm:[1,1,1,1] row_mask:0xf bank_mask:0xf// 000000002E1C: 0B02B2FA FF00557C
	v_mul_f32_dpp v130, v124, v90 quad_perm:[2,2,2,2] row_mask:0xf bank_mask:0xf// 000000002E24: 0B04B4FA FF00AA7C
	v_mul_f32_dpp v131, v124, v91 quad_perm:[3,3,3,3] row_mask:0xf bank_mask:0xf// 000000002E2C: 0B06B6FA FF00FF7C
	v_mul_f32_dpp v132, v125, v92 quad_perm:[0,0,0,0] row_mask:0xf bank_mask:0xf// 000000002E34: 0B08B8FA FF00007D
	v_mul_f32_dpp v133, v125, v93 quad_perm:[1,1,1,1] row_mask:0xf bank_mask:0xf// 000000002E3C: 0B0ABAFA FF00557D
	v_mul_f32_dpp v134, v125, v94 quad_perm:[2,2,2,2] row_mask:0xf bank_mask:0xf// 000000002E44: 0B0CBCFA FF00AA7D
	v_mul_f32_dpp v135, v125, v95 quad_perm:[3,3,3,3] row_mask:0xf bank_mask:0xf// 000000002E4C: 0B0EBEFA FF00FF7D
	v_mul_f32_dpp v136, v126, v96 quad_perm:[0,0,0,0] row_mask:0xf bank_mask:0xf// 000000002E54: 0B10C0FA FF00007E
	v_mul_f32_dpp v137, v126, v97 quad_perm:[1,1,1,1] row_mask:0xf bank_mask:0xf// 000000002E5C: 0B12C2FA FF00557E
	v_mul_f32_dpp v138, v126, v98 quad_perm:[2,2,2,2] row_mask:0xf bank_mask:0xf// 000000002E64: 0B14C4FA FF00AA7E
	v_mul_f32_dpp v139, v126, v99 quad_perm:[3,3,3,3] row_mask:0xf bank_mask:0xf// 000000002E6C: 0B16C6FA FF00FF7E
	v_mul_f32_dpp v140, v127, v100 quad_perm:[0,0,0,0] row_mask:0xf bank_mask:0xf// 000000002E74: 0B18C8FA FF00007F
	v_mul_f32_dpp v141, v127, v101 quad_perm:[1,1,1,1] row_mask:0xf bank_mask:0xf// 000000002E7C: 0B1ACAFA FF00557F
	v_mul_f32_dpp v142, v127, v102 quad_perm:[2,2,2,2] row_mask:0xf bank_mask:0xf// 000000002E84: 0B1CCCFA FF00AA7F
	v_mul_f32_dpp v143, v127, v103 quad_perm:[3,3,3,3] row_mask:0xf bank_mask:0xf// 000000002E8C: 0B1ECEFA FF00FF7F
	v_mov_b32_e32 v50, 0x358637bd                              // 000000002E94: 7E6402FF 358637BD
	v_max3_f32 v50, |v128|, |v129|, v50                        // 000000002E9C: D1D30332 04CB0380
	v_max3_f32 v50, |v130|, |v131|, v50                        // 000000002EA4: D1D30332 04CB0782
	v_max3_f32 v50, |v132|, |v133|, v50                        // 000000002EAC: D1D30332 04CB0B84
	v_max3_f32 v50, |v134|, |v135|, v50                        // 000000002EB4: D1D30332 04CB0F86
	v_max3_f32 v50, |v136|, |v137|, v50                        // 000000002EBC: D1D30332 04CB1388
	v_max3_f32 v50, |v138|, |v139|, v50                        // 000000002EC4: D1D30332 04CB178A
	v_max3_f32 v50, |v140|, |v141|, v50                        // 000000002ECC: D1D30332 04CB1B8C
	v_max3_f32 v50, |v142|, |v143|, v50                        // 000000002ED4: D1D30332 04CB1F8E
	buffer_load_dwordx4 v[236:239], v37, s[20:23], 0 offen     // 000000002EDC: E05C1000 8005EC25
	ds_write_b32 v11, v50 offset:5248                          // 000000002EE4: D81A1480 0000320B
	v_sub_f32_e32 v51, v14, v15                                // 000000002EEC: 04661F0E
	v_cndmask_b32_e64 v51, v51, 0, s[40:41]                    // 000000002EF0: D1000033 00A10133
	v_mov_b32_e32 v14, v15                                     // 000000002EF8: 7E1C030F
	v_mul_f32_e32 v51, s64, v51                                // 000000002EFC: 0A666640
	v_exp_f32_e32 v51, v51                                     // 000000002F00: 7E664133
	s_waitcnt lgkmcnt(0)                                       // 000000002F04: BF8CC07F
	s_barrier                                                  // 000000002F08: BF8A0000
	ds_read_b32 v64, v10 offset:5248                           // 000000002F0C: D86C1480 4000000A
	ds_read_b32 v65, v10 offset:5312                           // 000000002F14: D86C14C0 4100000A
	ds_read_b32 v66, v10 offset:5376                           // 000000002F1C: D86C1500 4200000A
	ds_read_b32 v67, v10 offset:5440                           // 000000002F24: D86C1540 4300000A
	ds_read_b32 v68, v10 offset:5504                           // 000000002F2C: D86C1580 4400000A
	ds_read_b32 v69, v10 offset:5568                           // 000000002F34: D86C15C0 4500000A
	ds_read_b32 v70, v10 offset:5632                           // 000000002F3C: D86C1600 4600000A
	ds_read_b32 v71, v10 offset:5696                           // 000000002F44: D86C1640 4700000A
	ds_read_b32 v72, v10 offset:5760                           // 000000002F4C: D86C1680 4800000A
	ds_read_b32 v73, v10 offset:5824                           // 000000002F54: D86C16C0 4900000A
	ds_read_b32 v74, v10 offset:5888                           // 000000002F5C: D86C1700 4A00000A
	ds_read_b32 v75, v10 offset:5952                           // 000000002F64: D86C1740 4B00000A
	ds_read_b32 v76, v10 offset:6016                           // 000000002F6C: D86C1780 4C00000A
	ds_read_b32 v77, v10 offset:6080                           // 000000002F74: D86C17C0 4D00000A
	ds_read_b32 v78, v10 offset:6144                           // 000000002F7C: D86C1800 4E00000A
	ds_read_b32 v79, v10 offset:6208                           // 000000002F84: D86C1840 4F00000A
	v_mul_f32_e32 v44, v51, v44                                // 000000002F8C: 0A585933
	v_mov_b32_e32 v45, v88                                     // 000000002F90: 7E5A0358
	v_add_f32_e32 v45, v89, v45                                // 000000002F94: 025A5B59
	v_add_f32_e32 v45, v90, v45                                // 000000002F98: 025A5B5A
	v_add_f32_e32 v45, v91, v45                                // 000000002F9C: 025A5B5B
	v_add_f32_e32 v45, v92, v45                                // 000000002FA0: 025A5B5C
	v_add_f32_e32 v45, v93, v45                                // 000000002FA4: 025A5B5D
	v_add_f32_e32 v45, v94, v45                                // 000000002FA8: 025A5B5E
	v_add_f32_e32 v45, v95, v45                                // 000000002FAC: 025A5B5F
	v_add_f32_e32 v45, v96, v45                                // 000000002FB0: 025A5B60
	v_add_f32_e32 v45, v97, v45                                // 000000002FB4: 025A5B61
	v_add_f32_e32 v45, v98, v45                                // 000000002FB8: 025A5B62
	v_add_f32_e32 v45, v99, v45                                // 000000002FBC: 025A5B63
	v_add_f32_e32 v45, v100, v45                               // 000000002FC0: 025A5B64
	v_add_f32_e32 v45, v101, v45                               // 000000002FC4: 025A5B65
	v_add_f32_e32 v45, v102, v45                               // 000000002FC8: 025A5B66
	v_add_f32_e32 v45, v103, v45                               // 000000002FCC: 025A5B67
	v_add_f32_e32 v44, v45, v44                                // 000000002FD0: 0258592D
	s_waitcnt lgkmcnt(0)                                       // 000000002FD4: BF8CC07F
	v_max3_f32 v50, |v64|, |v65|, v50                          // 000000002FD8: D1D30332 04CA8340
	v_max3_f32 v50, |v66|, |v67|, v50                          // 000000002FE0: D1D30332 04CA8742
	v_max3_f32 v50, |v68|, |v69|, v50                          // 000000002FE8: D1D30332 04CA8B44
	v_max3_f32 v50, |v70|, |v71|, v50                          // 000000002FF0: D1D30332 04CA8F46
	v_max3_f32 v50, |v72|, |v73|, v50                          // 000000002FF8: D1D30332 04CA9348
	v_max3_f32 v50, |v74|, |v75|, v50                          // 000000003000: D1D30332 04CA974A
	v_max3_f32 v50, |v76|, |v77|, v50                          // 000000003008: D1D30332 04CA9B4C
	v_max3_f32 v50, |v78|, |v79|, v50                          // 000000003010: D1D30332 04CA9F4E
	s_nop 2                                                    // 000000003018: BF800002
	v_rcp_f32_e32 v50, v50                                     // 00000000301C: 7E644532
	s_nop 1                                                    // 000000003020: BF800001
	v_mul_f32_e32 v50, 0x43700000, v50                         // 000000003024: 0A6464FF 43700000
	v_mul_f32_e32 v88, v50, v128                               // 00000000302C: 0AB10132
	v_mul_f32_e32 v89, v50, v129                               // 000000003030: 0AB30332
	v_mul_f32_e32 v90, v50, v130                               // 000000003034: 0AB50532
	v_mul_f32_e32 v91, v50, v131                               // 000000003038: 0AB70732
	v_mul_f32_e32 v92, v50, v132                               // 00000000303C: 0AB90932
	v_mul_f32_e32 v93, v50, v133                               // 000000003040: 0ABB0B32
	v_mul_f32_e32 v94, v50, v134                               // 000000003044: 0ABD0D32
	v_mul_f32_e32 v95, v50, v135                               // 000000003048: 0ABF0F32
	v_mul_f32_e32 v96, v50, v136                               // 00000000304C: 0AC11132
	v_mul_f32_e32 v97, v50, v137                               // 000000003050: 0AC31332
	v_mul_f32_e32 v98, v50, v138                               // 000000003054: 0AC51532
	v_mul_f32_e32 v99, v50, v139                               // 000000003058: 0AC71732
	v_mul_f32_e32 v100, v50, v140                              // 00000000305C: 0AC91932
	v_mul_f32_e32 v101, v50, v141                              // 000000003060: 0ACB1B32
	v_mul_f32_e32 v102, v50, v142                              // 000000003064: 0ACD1D32
	v_mul_f32_e32 v103, v50, v143                              // 000000003068: 0ACF1F32
	v_cvt_pk_fp8_f32 v88, v88, v89                             // 00000000306C: D2A20058 0002B358
	v_cvt_pk_fp8_f32 v88, v90, v91 op_sel:[0,0,1]              // 000000003074: D2A24058 0002B75A
	v_cvt_pk_fp8_f32 v89, v92, v93                             // 00000000307C: D2A20059 0002BB5C
	v_cvt_pk_fp8_f32 v89, v94, v95 op_sel:[0,0,1]              // 000000003084: D2A24059 0002BF5E
	v_cvt_pk_fp8_f32 v90, v96, v97                             // 00000000308C: D2A2005A 0002C360
	v_cvt_pk_fp8_f32 v90, v98, v99 op_sel:[0,0,1]              // 000000003094: D2A2405A 0002C762
	v_cvt_pk_fp8_f32 v91, v100, v101                           // 00000000309C: D2A2005B 0002CB64
	v_cvt_pk_fp8_f32 v91, v102, v103 op_sel:[0,0,1]            // 0000000030A4: D2A2405B 0002CF66
	ds_write_b32 v13, v88 offset:6272                          // 0000000030AC: D81A1880 0000580D
	ds_write_b32 v13, v89 offset:7296                          // 0000000030B4: D81A1C80 0000590D
	ds_write_b32 v13, v90 offset:8320                          // 0000000030BC: D81A2080 00005A0D
	ds_write_b32 v13, v91 offset:9344                          // 0000000030C4: D81A2480 00005B0D
	v_mul_f32_e32 v104, v49, v104                              // 0000000030CC: 0AD0D131
	v_mul_f32_e32 v105, v49, v105                              // 0000000030D0: 0AD2D331
	v_mul_f32_e32 v106, v49, v106                              // 0000000030D4: 0AD4D531
	v_mul_f32_e32 v107, v49, v107                              // 0000000030D8: 0AD6D731
	v_mul_f32_e32 v108, v49, v108                              // 0000000030DC: 0AD8D931
	v_mul_f32_e32 v109, v49, v109                              // 0000000030E0: 0ADADB31
	v_mul_f32_e32 v110, v49, v110                              // 0000000030E4: 0ADCDD31
	v_mul_f32_e32 v111, v49, v111                              // 0000000030E8: 0ADEDF31
	v_rcp_f32_e32 v49, v50                                     // 0000000030EC: 7E624532
	s_waitcnt lgkmcnt(0)                                       // 0000000030F0: BF8CC07F
	s_barrier                                                  // 0000000030F4: BF8A0000
	ds_read_b64 v[88:89], v12 offset:6272                      // 0000000030F8: D8EC1880 5800000C
	ds_read_b64 v[90:91], v12 offset:6400                      // 000000003100: D8EC1900 5A00000C
	ds_read_b64 v[92:93], v12 offset:7296                      // 000000003108: D8EC1C80 5C00000C
	ds_read_b64 v[94:95], v12 offset:7424                      // 000000003110: D8EC1D00 5E00000C
	ds_read_b64 v[96:97], v12 offset:8320                      // 000000003118: D8EC2080 6000000C
	ds_read_b64 v[98:99], v12 offset:8448                      // 000000003120: D8EC2100 6200000C
	ds_read_b64 v[100:101], v12 offset:9344                    // 000000003128: D8EC2480 6400000C
	ds_read_b64 v[102:103], v12 offset:9472                    // 000000003130: D8EC2500 6600000C
	v_add_f32_e32 v112, v112, v104                             // 000000003138: 02E0D170
	v_add_f32_e32 v113, v113, v105                             // 00000000313C: 02E2D371
	v_add_f32_e32 v114, v114, v106                             // 000000003140: 02E4D572
	v_add_f32_e32 v115, v115, v107                             // 000000003144: 02E6D773
	v_add_f32_e32 v116, v116, v108                             // 000000003148: 02E8D974
	v_add_f32_e32 v117, v117, v109                             // 00000000314C: 02EADB75
	v_add_f32_e32 v118, v118, v110                             // 000000003150: 02ECDD76
	v_add_f32_e32 v119, v119, v111                             // 000000003154: 02EEDF77
	s_waitcnt vmcnt(15)                                        // 000000003158: BF8C0F7F
	s_waitcnt lgkmcnt(7)                                       // 00000000315C: BF8CC77F
	v_mfma_f32_16x16x32_fp8_fp8 v[104:107], v[192:193], v[88:89], 0// 000000003160: D3F30068 0202B1C0
	s_waitcnt lgkmcnt(6)                                       // 000000003168: BF8CC67F
	v_mfma_f32_16x16x32_fp8_fp8 v[104:107], v[194:195], v[90:91], v[104:107]// 00000000316C: D3F30068 05A2B5C2
	buffer_load_dwordx4 v[240:243], v34, s[20:23], 0 offen offset:1024// 000000003174: E05C1400 8005F022
	s_waitcnt lgkmcnt(5)                                       // 00000000317C: BF8CC57F
	v_mfma_f32_16x16x32_fp8_fp8 v[104:107], v[196:197], v[92:93], v[104:107]// 000000003180: D3F30068 05A2B9C4
	s_waitcnt lgkmcnt(4)                                       // 000000003188: BF8CC47F
	v_mfma_f32_16x16x32_fp8_fp8 v[104:107], v[198:199], v[94:95], v[104:107]// 00000000318C: D3F30068 05A2BDC6
	s_waitcnt lgkmcnt(3)                                       // 000000003194: BF8CC37F
	v_mfma_f32_16x16x32_fp8_fp8 v[104:107], v[200:201], v[96:97], v[104:107]// 000000003198: D3F30068 05A2C1C8
	s_waitcnt lgkmcnt(2)                                       // 0000000031A0: BF8CC27F
	v_mfma_f32_16x16x32_fp8_fp8 v[104:107], v[202:203], v[98:99], v[104:107]// 0000000031A4: D3F30068 05A2C5CA
	buffer_load_dwordx4 v[244:247], v35, s[20:23], 0 offen offset:1024// 0000000031AC: E05C1400 8005F423
	s_waitcnt lgkmcnt(1)                                       // 0000000031B4: BF8CC17F
	v_mfma_f32_16x16x32_fp8_fp8 v[104:107], v[204:205], v[100:101], v[104:107]// 0000000031B8: D3F30068 05A2C9CC
	s_waitcnt lgkmcnt(0)                                       // 0000000031C0: BF8CC07F
	v_mfma_f32_16x16x32_fp8_fp8 v[104:107], v[206:207], v[102:103], v[104:107]// 0000000031C4: D3F30068 05A2CDCE
	v_mfma_f32_16x16x32_fp8_fp8 v[108:111], v[208:209], v[88:89], 0// 0000000031CC: D3F3006C 0202B1D0
	v_mfma_f32_16x16x32_fp8_fp8 v[108:111], v[210:211], v[90:91], v[108:111]// 0000000031D4: D3F3006C 05B2B5D2
	buffer_load_dwordx4 v[248:251], v36, s[20:23], 0 offen offset:1024// 0000000031DC: E05C1400 8005F824
	v_mfma_f32_16x16x32_fp8_fp8 v[108:111], v[212:213], v[92:93], v[108:111]// 0000000031E4: D3F3006C 05B2B9D4
	v_mfma_f32_16x16x32_fp8_fp8 v[108:111], v[214:215], v[94:95], v[108:111]// 0000000031EC: D3F3006C 05B2BDD6
	v_mfma_f32_16x16x32_fp8_fp8 v[108:111], v[216:217], v[96:97], v[108:111]// 0000000031F4: D3F3006C 05B2C1D8
	v_mfma_f32_16x16x32_fp8_fp8 v[108:111], v[218:219], v[98:99], v[108:111]// 0000000031FC: D3F3006C 05B2C5DA
	buffer_load_dwordx4 v[252:255], v37, s[20:23], 0 offen offset:1024// 000000003204: E05C1400 8005FC25
	v_mfma_f32_16x16x32_fp8_fp8 v[108:111], v[220:221], v[100:101], v[108:111]// 00000000320C: D3F3006C 05B2C9DC
	s_lshr_b32 s57, s70, 4                                     // 000000003214: 8F398446
	s_add_u32 s57, 48, s57                                     // 000000003218: 803939B0
	v_mfma_f32_16x16x32_fp8_fp8 v[108:111], v[222:223], v[102:103], v[108:111]// 00000000321C: D3F3006C 05B2CDDE
	s_cmp_ge_u32 s57, s73                                      // 000000003224: BF094939
	s_cselect_b32 s56, 0, s56                                  // 000000003228: 85383880
	v_add_u32_e32 v1, s56, v1                                  // 00000000322C: 68020238
	s_addk_i32 s70, 0x100                                      // 000000003230: B7460100
	s_cmp_lt_i32 s70, s71                                      // 000000003234: BF044746
	s_cbranch_scc0 label_069C                                  // 000000003238: BF84024D
	s_waitcnt vmcnt(8) lgkmcnt(0)                              // 00000000323C: BF8C0078
	v_mul_u32_u24_dpp v38, v16, v53 row_newbcast:0 row_mask:0xf bank_mask:0xf// 000000003240: 104C6AFA FF015010
	v_mul_u32_u24_dpp v39, v16, v53 row_newbcast:4 row_mask:0xf bank_mask:0xf// 000000003248: 104E6AFA FF015410
	v_mul_u32_u24_dpp v40, v16, v53 row_newbcast:8 row_mask:0xf bank_mask:0xf// 000000003250: 10506AFA FF015810
	v_mul_u32_u24_dpp v41, v16, v53 row_newbcast:12 row_mask:0xf bank_mask:0xf// 000000003258: 10526AFA FF015C10
	v_add_u32_e32 v22, v38, v6                                 // 000000003260: 682C0D26
	v_add_u32_e32 v23, v39, v6                                 // 000000003264: 682E0D27
	v_add_u32_e32 v24, v40, v6                                 // 000000003268: 68300D28
	v_add_u32_e32 v25, v41, v6                                 // 00000000326C: 68320D29
	v_mul_u32_u24_dpp v38, v16, v63 quad_perm:[0,0,0,0] row_mask:0xf bank_mask:0xf// 000000003270: 104C7EFA FF000010
	v_add_u32_e32 v2, v38, v59                                 // 000000003278: 68047726
	v_mul_u32_u24_dpp v38, v16, v63 quad_perm:[0,0,0,0] row_mask:0xf bank_mask:0xf// 00000000327C: 104C7EFA FF000010
	v_add_u32_e32 v55, v38, v60                                // 000000003284: 686E7926
	v_mfma_f32_16x16x32_fp8_fp8 v[88:91], v[160:161], v[80:81], 0// 000000003288: D3F30058 0202A1A0
	v_mfma_f32_16x16x32_fp8_fp8 v[88:91], v[162:163], v[82:83], v[88:91]// 000000003290: D3F30058 0562A5A2
	buffer_load_dwordx4 v[128:131], v22, s[16:19], 0 offen     // 000000003298: E05C1000 80048016
	v_mfma_f32_16x16x32_fp8_fp8 v[88:91], v[164:165], v[84:85], v[88:91]// 0000000032A0: D3F30058 0562A9A4
	v_mfma_f32_16x16x32_fp8_fp8 v[88:91], v[166:167], v[86:87], v[88:91]// 0000000032A8: D3F30058 0562ADA6
	buffer_load_dword v17, v1, s[24:27], 0 offen               // 0000000032B0: E0501000 80061101
	v_mfma_f32_16x16x32_fp8_fp8 v[92:95], v[168:169], v[80:81], 0// 0000000032B8: D3F3005C 0202A1A8
	v_mfma_f32_16x16x32_fp8_fp8 v[92:95], v[170:171], v[82:83], v[92:95]// 0000000032C0: D3F3005C 0572A5AA
	buffer_load_dwordx4 v[132:135], v22, s[16:19], 0 offen offset:1024// 0000000032C8: E05C1400 80048416
	v_mfma_f32_16x16x32_fp8_fp8 v[92:95], v[172:173], v[84:85], v[92:95]// 0000000032D0: D3F3005C 0572A9AC
	v_mfma_f32_16x16x32_fp8_fp8 v[92:95], v[174:175], v[86:87], v[92:95]// 0000000032D8: D3F3005C 0572ADAE
	v_mfma_f32_16x16x32_fp8_fp8 v[96:99], v[176:177], v[80:81], 0// 0000000032E0: D3F30060 0202A1B0
	v_mfma_f32_16x16x32_fp8_fp8 v[96:99], v[178:179], v[82:83], v[96:99]// 0000000032E8: D3F30060 0582A5B2
	buffer_load_dwordx4 v[136:139], v23, s[16:19], 0 offen     // 0000000032F0: E05C1000 80048817
	v_mfma_f32_16x16x32_fp8_fp8 v[96:99], v[180:181], v[84:85], v[96:99]// 0000000032F8: D3F30060 0582A9B4
	v_mfma_f32_16x16x32_fp8_fp8 v[96:99], v[182:183], v[86:87], v[96:99]// 000000003300: D3F30060 0582ADB6
	v_mfma_f32_16x16x32_fp8_fp8 v[100:103], v[184:185], v[80:81], 0// 000000003308: D3F30064 0202A1B8
	v_mfma_f32_16x16x32_fp8_fp8 v[100:103], v[186:187], v[82:83], v[100:103]// 000000003310: D3F30064 0592A5BA
	buffer_load_dwordx4 v[140:143], v23, s[16:19], 0 offen offset:1024// 000000003318: E05C1400 80048C17
	v_mfma_f32_16x16x32_fp8_fp8 v[100:103], v[188:189], v[84:85], v[100:103]// 000000003320: D3F30064 0592A9BC
	v_mfma_f32_16x16x32_fp8_fp8 v[100:103], v[190:191], v[86:87], v[100:103]// 000000003328: D3F30064 0592ADBE
	buffer_load_dword v46, v2, s[32:35], 0 offen               // 000000003330: E0501000 80082E02
	v_mov_b32_dpp v38, v47 row_shr:4 row_mask:0xf bank_mask:0xf// 000000003338: 7E4C02FA FF01142F
	v_mov_b32_dpp v39, v47 row_shl:4 row_mask:0xf bank_mask:0xf// 000000003340: 7E4E02FA FF01042F
	v_cndmask_b32_e64 v120, v47, v38, s[44:45]                 // 000000003348: D1000078 00B24D2F
	v_cndmask_b32_e64 v121, v39, v47, s[44:45]                 // 000000003350: D1000079 00B25F27
	v_mov_b32_dpp v38, v120 row_shr:8 row_mask:0xf bank_mask:0xf// 000000003358: 7E4C02FA FF011878
	v_mov_b32_dpp v39, v120 row_shl:8 row_mask:0xf bank_mask:0xf// 000000003360: 7E4E02FA FF010878
	v_mov_b32_dpp v40, v121 row_shr:8 row_mask:0xf bank_mask:0xf// 000000003368: 7E5002FA FF011879
	v_mov_b32_dpp v41, v121 row_shl:8 row_mask:0xf bank_mask:0xf// 000000003370: 7E5202FA FF010879
	v_mov_b32_e32 v42, v120                                    // 000000003378: 7E540378
	v_mov_b32_e32 v43, v121                                    // 00000000337C: 7E560379
	v_cndmask_b32_e64 v120, v42, v38, s[42:43]                 // 000000003380: D1000078 00AA4D2A
	v_cndmask_b32_e64 v122, v42, v39, s[78:79]                 // 000000003388: D100007A 013A4F2A
	v_cndmask_b32_e64 v121, v43, v40, s[42:43]                 // 000000003390: D1000079 00AA512B
	v_cndmask_b32_e64 v123, v43, v41, s[78:79]                 // 000000003398: D100007B 013A532B
	v_mov_b32_dpp v38, v58 row_shr:4 row_mask:0xf bank_mask:0xf// 0000000033A0: 7E4C02FA FF01143A
	v_mov_b32_dpp v39, v58 row_shl:4 row_mask:0xf bank_mask:0xf// 0000000033A8: 7E4E02FA FF01043A
	v_cndmask_b32_e64 v124, v58, v38, s[44:45]                 // 0000000033B0: D100007C 00B24D3A
	v_cndmask_b32_e64 v125, v39, v58, s[44:45]                 // 0000000033B8: D100007D 00B27527
	v_mov_b32_dpp v38, v124 row_shr:8 row_mask:0xf bank_mask:0xf// 0000000033C0: 7E4C02FA FF01187C
	v_mov_b32_dpp v39, v124 row_shl:8 row_mask:0xf bank_mask:0xf// 0000000033C8: 7E4E02FA FF01087C
	v_mov_b32_dpp v40, v125 row_shr:8 row_mask:0xf bank_mask:0xf// 0000000033D0: 7E5002FA FF01187D
	v_mov_b32_dpp v41, v125 row_shl:8 row_mask:0xf bank_mask:0xf// 0000000033D8: 7E5202FA FF01087D
	v_mov_b32_e32 v42, v124                                    // 0000000033E0: 7E54037C
	v_mov_b32_e32 v43, v125                                    // 0000000033E4: 7E56037D
	v_cndmask_b32_e64 v124, v42, v38, s[42:43]                 // 0000000033E8: D100007C 00AA4D2A
	v_cndmask_b32_e64 v126, v42, v39, s[78:79]                 // 0000000033F0: D100007E 013A4F2A
	v_cndmask_b32_e64 v125, v43, v40, s[42:43]                 // 0000000033F8: D100007D 00AA512B
	v_cndmask_b32_e64 v127, v43, v41, s[78:79]                 // 000000003400: D100007F 013A532B
	buffer_load_dword v57, v55, s[36:39], 0 offen              // 000000003408: E0501000 80093937
	v_mul_f32_e32 v88, v48, v88                                // 000000003410: 0AB0B130
	v_mul_f32_e32 v89, v48, v89                                // 000000003414: 0AB2B330
	v_mul_f32_e32 v90, v48, v90                                // 000000003418: 0AB4B530
	v_mul_f32_e32 v91, v48, v91                                // 00000000341C: 0AB6B730
	v_mul_f32_e32 v92, v48, v92                                // 000000003420: 0AB8B930
	v_mul_f32_e32 v93, v48, v93                                // 000000003424: 0ABABB30
	v_mul_f32_e32 v94, v48, v94                                // 000000003428: 0ABCBD30
	v_mul_f32_e32 v95, v48, v95                                // 00000000342C: 0ABEBF30
	v_mul_f32_e32 v96, v48, v96                                // 000000003430: 0AC0C130
	v_mul_f32_e32 v97, v48, v97                                // 000000003434: 0AC2C330
	v_mul_f32_e32 v98, v48, v98                                // 000000003438: 0AC4C530
	v_mul_f32_e32 v99, v48, v99                                // 00000000343C: 0AC6C730
	v_mul_f32_e32 v100, v48, v100                              // 000000003440: 0AC8C930
	v_mul_f32_e32 v101, v48, v101                              // 000000003444: 0ACACB30
	v_mul_f32_e32 v102, v48, v102                              // 000000003448: 0ACCCD30
	v_mul_f32_e32 v103, v48, v103                              // 00000000344C: 0ACECF30
	buffer_load_dwordx4 v[144:147], v24, s[16:19], 0 offen     // 000000003450: E05C1000 80049018
	v_mul_f32_dpp v88, v120, v88 quad_perm:[0,0,0,0] row_mask:0xf bank_mask:0xf// 000000003458: 0AB0B0FA FF000078
	v_mul_f32_dpp v89, v120, v89 quad_perm:[1,1,1,1] row_mask:0xf bank_mask:0xf// 000000003460: 0AB2B2FA FF005578
	v_mul_f32_dpp v90, v120, v90 quad_perm:[2,2,2,2] row_mask:0xf bank_mask:0xf// 000000003468: 0AB4B4FA FF00AA78
	v_mul_f32_dpp v91, v120, v91 quad_perm:[3,3,3,3] row_mask:0xf bank_mask:0xf// 000000003470: 0AB6B6FA FF00FF78
	v_mul_f32_dpp v92, v121, v92 quad_perm:[0,0,0,0] row_mask:0xf bank_mask:0xf// 000000003478: 0AB8B8FA FF000079
	v_mul_f32_dpp v93, v121, v93 quad_perm:[1,1,1,1] row_mask:0xf bank_mask:0xf// 000000003480: 0ABABAFA FF005579
	v_mul_f32_dpp v94, v121, v94 quad_perm:[2,2,2,2] row_mask:0xf bank_mask:0xf// 000000003488: 0ABCBCFA FF00AA79
	v_mul_f32_dpp v95, v121, v95 quad_perm:[3,3,3,3] row_mask:0xf bank_mask:0xf// 000000003490: 0ABEBEFA FF00FF79
	v_mul_f32_dpp v96, v122, v96 quad_perm:[0,0,0,0] row_mask:0xf bank_mask:0xf// 000000003498: 0AC0C0FA FF00007A
	v_mul_f32_dpp v97, v122, v97 quad_perm:[1,1,1,1] row_mask:0xf bank_mask:0xf// 0000000034A0: 0AC2C2FA FF00557A
	v_mul_f32_dpp v98, v122, v98 quad_perm:[2,2,2,2] row_mask:0xf bank_mask:0xf// 0000000034A8: 0AC4C4FA FF00AA7A
	v_mul_f32_dpp v99, v122, v99 quad_perm:[3,3,3,3] row_mask:0xf bank_mask:0xf// 0000000034B0: 0AC6C6FA FF00FF7A
	v_mul_f32_dpp v100, v123, v100 quad_perm:[0,0,0,0] row_mask:0xf bank_mask:0xf// 0000000034B8: 0AC8C8FA FF00007B
	v_mul_f32_dpp v101, v123, v101 quad_perm:[1,1,1,1] row_mask:0xf bank_mask:0xf// 0000000034C0: 0ACACAFA FF00557B
	v_mul_f32_dpp v102, v123, v102 quad_perm:[2,2,2,2] row_mask:0xf bank_mask:0xf// 0000000034C8: 0ACCCCFA FF00AA7B
	v_mul_f32_dpp v103, v123, v103 quad_perm:[3,3,3,3] row_mask:0xf bank_mask:0xf// 0000000034D0: 0ACECEFA FF00FF7B
	buffer_load_dwordx4 v[148:151], v24, s[16:19], 0 offen offset:1024// 0000000034D8: E05C1400 80049418
	v_mov_b32_e32 v50, v88                                     // 0000000034E0: 7E640358
	v_max3_f32 v50, v88, v89, v50                              // 0000000034E4: D1D30032 04CAB358
	v_max3_f32 v50, v90, v91, v50                              // 0000000034EC: D1D30032 04CAB75A
	v_max3_f32 v50, v92, v93, v50                              // 0000000034F4: D1D30032 04CABB5C
	v_max3_f32 v50, v94, v95, v50                              // 0000000034FC: D1D30032 04CABF5E
	v_max3_f32 v50, v96, v97, v50                              // 000000003504: D1D30032 04CAC360
	v_max3_f32 v50, v98, v99, v50                              // 00000000350C: D1D30032 04CAC762
	v_max3_f32 v50, v100, v101, v50                            // 000000003514: D1D30032 04CACB64
	v_max3_f32 v50, v102, v103, v50                            // 00000000351C: D1D30032 04CACF66
	ds_write_b32 v11, v50 offset:4224                          // 000000003524: D81A1080 0000320B
	buffer_load_dwordx4 v[152:155], v25, s[16:19], 0 offen     // 00000000352C: E05C1000 80049819
	v_mul_u32_u24_dpp v38, v16, v53 row_newbcast:1 row_mask:0xf bank_mask:0xf// 000000003534: 104C6AFA FF015110
	v_mul_u32_u24_dpp v39, v16, v53 row_newbcast:5 row_mask:0xf bank_mask:0xf// 00000000353C: 104E6AFA FF015510
	v_mul_u32_u24_dpp v40, v16, v53 row_newbcast:9 row_mask:0xf bank_mask:0xf// 000000003544: 10506AFA FF015910
	v_mul_u32_u24_dpp v41, v16, v53 row_newbcast:13 row_mask:0xf bank_mask:0xf// 00000000354C: 10526AFA FF015D10
	v_add_u32_e32 v30, v38, v7                                 // 000000003554: 683C0F26
	v_add_u32_e32 v31, v39, v7                                 // 000000003558: 683E0F27
	v_add_u32_e32 v32, v40, v7                                 // 00000000355C: 68400F28
	v_add_u32_e32 v33, v41, v7                                 // 000000003560: 68420F29
	s_waitcnt lgkmcnt(0)                                       // 000000003564: BF8CC07F
	s_barrier                                                  // 000000003568: BF8A0000
	ds_read_b32 v64, v10 offset:4224                           // 00000000356C: D86C1080 4000000A
	ds_read_b32 v65, v10 offset:4288                           // 000000003574: D86C10C0 4100000A
	ds_read_b32 v66, v10 offset:4352                           // 00000000357C: D86C1100 4200000A
	ds_read_b32 v67, v10 offset:4416                           // 000000003584: D86C1140 4300000A
	ds_read_b32 v68, v10 offset:4480                           // 00000000358C: D86C1180 4400000A
	ds_read_b32 v69, v10 offset:4544                           // 000000003594: D86C11C0 4500000A
	ds_read_b32 v70, v10 offset:4608                           // 00000000359C: D86C1200 4600000A
	ds_read_b32 v71, v10 offset:4672                           // 0000000035A4: D86C1240 4700000A
	ds_read_b32 v72, v10 offset:4736                           // 0000000035AC: D86C1280 4800000A
	ds_read_b32 v73, v10 offset:4800                           // 0000000035B4: D86C12C0 4900000A
	ds_read_b32 v74, v10 offset:4864                           // 0000000035BC: D86C1300 4A00000A
	ds_read_b32 v75, v10 offset:4928                           // 0000000035C4: D86C1340 4B00000A
	ds_read_b32 v76, v10 offset:4992                           // 0000000035CC: D86C1380 4C00000A
	ds_read_b32 v77, v10 offset:5056                           // 0000000035D4: D86C13C0 4D00000A
	ds_read_b32 v78, v10 offset:5120                           // 0000000035DC: D86C1400 4E00000A
	ds_read_b32 v79, v10 offset:5184                           // 0000000035E4: D86C1440 4F00000A
	buffer_load_dwordx4 v[156:159], v25, s[16:19], 0 offen offset:1024// 0000000035EC: E05C1400 80049C19
	v_mul_f32_e32 v112, v51, v112                              // 0000000035F4: 0AE0E133
	v_mul_f32_e32 v113, v51, v113                              // 0000000035F8: 0AE2E333
	v_mul_f32_e32 v114, v51, v114                              // 0000000035FC: 0AE4E533
	v_mul_f32_e32 v115, v51, v115                              // 000000003600: 0AE6E733
	v_mul_f32_e32 v116, v51, v116                              // 000000003604: 0AE8E933
	v_mul_f32_e32 v117, v51, v117                              // 000000003608: 0AEAEB33
	v_mul_f32_e32 v118, v51, v118                              // 00000000360C: 0AECED33
	v_mul_f32_e32 v119, v51, v119                              // 000000003610: 0AEEEF33
	s_waitcnt lgkmcnt(0)                                       // 000000003614: BF8CC07F
	v_max3_f32 v50, v64, v65, v50                              // 000000003618: D1D30032 04CA8340
	v_max3_f32 v50, v66, v67, v50                              // 000000003620: D1D30032 04CA8742
	v_max3_f32 v50, v68, v69, v50                              // 000000003628: D1D30032 04CA8B44
	v_max3_f32 v50, v70, v71, v50                              // 000000003630: D1D30032 04CA8F46
	v_max3_f32 v50, v72, v73, v50                              // 000000003638: D1D30032 04CA9348
	v_max3_f32 v50, v74, v75, v50                              // 000000003640: D1D30032 04CA974A
	v_max3_f32 v50, v76, v77, v50                              // 000000003648: D1D30032 04CA9B4C
	v_max3_f32 v50, v78, v79, v50                              // 000000003650: D1D30032 04CA9F4E
	buffer_load_dwordx4 v[192:195], v30, s[20:23], 0 offen     // 000000003658: E05C1000 8005C01E
	v_cmp_eq_u32_e64 s[40:41], v54, v14                        // 000000003660: D0CA0028 00021D36
	s_nop 1                                                    // 000000003668: BF800001
	v_max_f32_e32 v15, v50, v14                                // 00000000366C: 161E1D32
	v_mul_f32_e32 v52, s64, v15                                // 000000003670: 0A681E40
	v_fma_f32 v88, v88, s64, -v52                              // 000000003674: D1CB0058 84D08158
	v_fma_f32 v89, v89, s64, -v52                              // 00000000367C: D1CB0059 84D08159
	v_fma_f32 v90, v90, s64, -v52                              // 000000003684: D1CB005A 84D0815A
	v_fma_f32 v91, v91, s64, -v52                              // 00000000368C: D1CB005B 84D0815B
	v_fma_f32 v92, v92, s64, -v52                              // 000000003694: D1CB005C 84D0815C
	v_fma_f32 v93, v93, s64, -v52                              // 00000000369C: D1CB005D 84D0815D
	v_fma_f32 v94, v94, s64, -v52                              // 0000000036A4: D1CB005E 84D0815E
	v_fma_f32 v95, v95, s64, -v52                              // 0000000036AC: D1CB005F 84D0815F
	v_fma_f32 v96, v96, s64, -v52                              // 0000000036B4: D1CB0060 84D08160
	v_fma_f32 v97, v97, s64, -v52                              // 0000000036BC: D1CB0061 84D08161
	v_fma_f32 v98, v98, s64, -v52                              // 0000000036C4: D1CB0062 84D08162
	v_fma_f32 v99, v99, s64, -v52                              // 0000000036CC: D1CB0063 84D08163
	v_fma_f32 v100, v100, s64, -v52                            // 0000000036D4: D1CB0064 84D08164
	v_fma_f32 v101, v101, s64, -v52                            // 0000000036DC: D1CB0065 84D08165
	v_fma_f32 v102, v102, s64, -v52                            // 0000000036E4: D1CB0066 84D08166
	v_fma_f32 v103, v103, s64, -v52                            // 0000000036EC: D1CB0067 84D08167
	buffer_load_dwordx4 v[196:199], v31, s[20:23], 0 offen     // 0000000036F4: E05C1000 8005C41F
	v_exp_f32_e32 v88, v88                                     // 0000000036FC: 7EB04158
	v_exp_f32_e32 v89, v89                                     // 000000003700: 7EB24159
	v_exp_f32_e32 v90, v90                                     // 000000003704: 7EB4415A
	v_exp_f32_e32 v91, v91                                     // 000000003708: 7EB6415B
	v_exp_f32_e32 v92, v92                                     // 00000000370C: 7EB8415C
	v_exp_f32_e32 v93, v93                                     // 000000003710: 7EBA415D
	v_exp_f32_e32 v94, v94                                     // 000000003714: 7EBC415E
	v_exp_f32_e32 v95, v95                                     // 000000003718: 7EBE415F
	v_exp_f32_e32 v96, v96                                     // 00000000371C: 7EC04160
	v_exp_f32_e32 v97, v97                                     // 000000003720: 7EC24161
	v_exp_f32_e32 v98, v98                                     // 000000003724: 7EC44162
	v_exp_f32_e32 v99, v99                                     // 000000003728: 7EC64163
	v_exp_f32_e32 v100, v100                                   // 00000000372C: 7EC84164
	v_exp_f32_e32 v101, v101                                   // 000000003730: 7ECA4165
	v_exp_f32_e32 v102, v102                                   // 000000003734: 7ECC4166
	v_exp_f32_e32 v103, v103                                   // 000000003738: 7ECE4167
	buffer_load_dwordx4 v[200:203], v32, s[20:23], 0 offen     // 00000000373C: E05C1000 8005C820
	v_mul_f32_dpp v160, v124, v88 quad_perm:[0,0,0,0] row_mask:0xf bank_mask:0xf// 000000003744: 0B40B0FA FF00007C
	v_mul_f32_dpp v161, v124, v89 quad_perm:[1,1,1,1] row_mask:0xf bank_mask:0xf// 00000000374C: 0B42B2FA FF00557C
	v_mul_f32_dpp v162, v124, v90 quad_perm:[2,2,2,2] row_mask:0xf bank_mask:0xf// 000000003754: 0B44B4FA FF00AA7C
	v_mul_f32_dpp v163, v124, v91 quad_perm:[3,3,3,3] row_mask:0xf bank_mask:0xf// 00000000375C: 0B46B6FA FF00FF7C
	v_mul_f32_dpp v164, v125, v92 quad_perm:[0,0,0,0] row_mask:0xf bank_mask:0xf// 000000003764: 0B48B8FA FF00007D
	v_mul_f32_dpp v165, v125, v93 quad_perm:[1,1,1,1] row_mask:0xf bank_mask:0xf// 00000000376C: 0B4ABAFA FF00557D
	v_mul_f32_dpp v166, v125, v94 quad_perm:[2,2,2,2] row_mask:0xf bank_mask:0xf// 000000003774: 0B4CBCFA FF00AA7D
	v_mul_f32_dpp v167, v125, v95 quad_perm:[3,3,3,3] row_mask:0xf bank_mask:0xf// 00000000377C: 0B4EBEFA FF00FF7D
	v_mul_f32_dpp v168, v126, v96 quad_perm:[0,0,0,0] row_mask:0xf bank_mask:0xf// 000000003784: 0B50C0FA FF00007E
	v_mul_f32_dpp v169, v126, v97 quad_perm:[1,1,1,1] row_mask:0xf bank_mask:0xf// 00000000378C: 0B52C2FA FF00557E
	v_mul_f32_dpp v170, v126, v98 quad_perm:[2,2,2,2] row_mask:0xf bank_mask:0xf// 000000003794: 0B54C4FA FF00AA7E
	v_mul_f32_dpp v171, v126, v99 quad_perm:[3,3,3,3] row_mask:0xf bank_mask:0xf// 00000000379C: 0B56C6FA FF00FF7E
	v_mul_f32_dpp v172, v127, v100 quad_perm:[0,0,0,0] row_mask:0xf bank_mask:0xf// 0000000037A4: 0B58C8FA FF00007F
	v_mul_f32_dpp v173, v127, v101 quad_perm:[1,1,1,1] row_mask:0xf bank_mask:0xf// 0000000037AC: 0B5ACAFA FF00557F
	v_mul_f32_dpp v174, v127, v102 quad_perm:[2,2,2,2] row_mask:0xf bank_mask:0xf// 0000000037B4: 0B5CCCFA FF00AA7F
	v_mul_f32_dpp v175, v127, v103 quad_perm:[3,3,3,3] row_mask:0xf bank_mask:0xf// 0000000037BC: 0B5ECEFA FF00FF7F
	v_mov_b32_e32 v50, 0x358637bd                              // 0000000037C4: 7E6402FF 358637BD
	v_max3_f32 v50, |v160|, |v161|, v50                        // 0000000037CC: D1D30332 04CB43A0
	v_max3_f32 v50, |v162|, |v163|, v50                        // 0000000037D4: D1D30332 04CB47A2
	v_max3_f32 v50, |v164|, |v165|, v50                        // 0000000037DC: D1D30332 04CB4BA4
	v_max3_f32 v50, |v166|, |v167|, v50                        // 0000000037E4: D1D30332 04CB4FA6
	v_max3_f32 v50, |v168|, |v169|, v50                        // 0000000037EC: D1D30332 04CB53A8
	v_max3_f32 v50, |v170|, |v171|, v50                        // 0000000037F4: D1D30332 04CB57AA
	v_max3_f32 v50, |v172|, |v173|, v50                        // 0000000037FC: D1D30332 04CB5BAC
	v_max3_f32 v50, |v174|, |v175|, v50                        // 000000003804: D1D30332 04CB5FAE
	buffer_load_dwordx4 v[204:207], v33, s[20:23], 0 offen     // 00000000380C: E05C1000 8005CC21
	ds_write_b32 v11, v50 offset:5248                          // 000000003814: D81A1480 0000320B
	v_sub_f32_e32 v51, v14, v15                                // 00000000381C: 04661F0E
	v_cndmask_b32_e64 v51, v51, 0, s[40:41]                    // 000000003820: D1000033 00A10133
	v_mov_b32_e32 v14, v15                                     // 000000003828: 7E1C030F
	v_mul_f32_e32 v51, s64, v51                                // 00000000382C: 0A666640
	v_exp_f32_e32 v51, v51                                     // 000000003830: 7E664133
	s_waitcnt lgkmcnt(0)                                       // 000000003834: BF8CC07F
	s_barrier                                                  // 000000003838: BF8A0000
	ds_read_b32 v64, v10 offset:5248                           // 00000000383C: D86C1480 4000000A
	ds_read_b32 v65, v10 offset:5312                           // 000000003844: D86C14C0 4100000A
	ds_read_b32 v66, v10 offset:5376                           // 00000000384C: D86C1500 4200000A
	ds_read_b32 v67, v10 offset:5440                           // 000000003854: D86C1540 4300000A
	ds_read_b32 v68, v10 offset:5504                           // 00000000385C: D86C1580 4400000A
	ds_read_b32 v69, v10 offset:5568                           // 000000003864: D86C15C0 4500000A
	ds_read_b32 v70, v10 offset:5632                           // 00000000386C: D86C1600 4600000A
	ds_read_b32 v71, v10 offset:5696                           // 000000003874: D86C1640 4700000A
	ds_read_b32 v72, v10 offset:5760                           // 00000000387C: D86C1680 4800000A
	ds_read_b32 v73, v10 offset:5824                           // 000000003884: D86C16C0 4900000A
	ds_read_b32 v74, v10 offset:5888                           // 00000000388C: D86C1700 4A00000A
	ds_read_b32 v75, v10 offset:5952                           // 000000003894: D86C1740 4B00000A
	ds_read_b32 v76, v10 offset:6016                           // 00000000389C: D86C1780 4C00000A
	ds_read_b32 v77, v10 offset:6080                           // 0000000038A4: D86C17C0 4D00000A
	ds_read_b32 v78, v10 offset:6144                           // 0000000038AC: D86C1800 4E00000A
	ds_read_b32 v79, v10 offset:6208                           // 0000000038B4: D86C1840 4F00000A
	v_mul_f32_e32 v44, v51, v44                                // 0000000038BC: 0A585933
	v_mov_b32_e32 v45, v88                                     // 0000000038C0: 7E5A0358
	v_add_f32_e32 v45, v89, v45                                // 0000000038C4: 025A5B59
	v_add_f32_e32 v45, v90, v45                                // 0000000038C8: 025A5B5A
	v_add_f32_e32 v45, v91, v45                                // 0000000038CC: 025A5B5B
	v_add_f32_e32 v45, v92, v45                                // 0000000038D0: 025A5B5C
	v_add_f32_e32 v45, v93, v45                                // 0000000038D4: 025A5B5D
	v_add_f32_e32 v45, v94, v45                                // 0000000038D8: 025A5B5E
	v_add_f32_e32 v45, v95, v45                                // 0000000038DC: 025A5B5F
	v_add_f32_e32 v45, v96, v45                                // 0000000038E0: 025A5B60
	v_add_f32_e32 v45, v97, v45                                // 0000000038E4: 025A5B61
	v_add_f32_e32 v45, v98, v45                                // 0000000038E8: 025A5B62
	v_add_f32_e32 v45, v99, v45                                // 0000000038EC: 025A5B63
	v_add_f32_e32 v45, v100, v45                               // 0000000038F0: 025A5B64
	v_add_f32_e32 v45, v101, v45                               // 0000000038F4: 025A5B65
	v_add_f32_e32 v45, v102, v45                               // 0000000038F8: 025A5B66
	v_add_f32_e32 v45, v103, v45                               // 0000000038FC: 025A5B67
	v_add_f32_e32 v44, v45, v44                                // 000000003900: 0258592D
	s_waitcnt lgkmcnt(0)                                       // 000000003904: BF8CC07F
	v_max3_f32 v50, |v64|, |v65|, v50                          // 000000003908: D1D30332 04CA8340
	v_max3_f32 v50, |v66|, |v67|, v50                          // 000000003910: D1D30332 04CA8742
	v_max3_f32 v50, |v68|, |v69|, v50                          // 000000003918: D1D30332 04CA8B44
	v_max3_f32 v50, |v70|, |v71|, v50                          // 000000003920: D1D30332 04CA8F46
	v_max3_f32 v50, |v72|, |v73|, v50                          // 000000003928: D1D30332 04CA9348
	v_max3_f32 v50, |v74|, |v75|, v50                          // 000000003930: D1D30332 04CA974A
	v_max3_f32 v50, |v76|, |v77|, v50                          // 000000003938: D1D30332 04CA9B4C
	v_max3_f32 v50, |v78|, |v79|, v50                          // 000000003940: D1D30332 04CA9F4E
	s_nop 2                                                    // 000000003948: BF800002
	v_rcp_f32_e32 v50, v50                                     // 00000000394C: 7E644532
	s_nop 1                                                    // 000000003950: BF800001
	v_mul_f32_e32 v50, 0x43700000, v50                         // 000000003954: 0A6464FF 43700000
	v_mul_f32_e32 v88, v50, v160                               // 00000000395C: 0AB14132
	v_mul_f32_e32 v89, v50, v161                               // 000000003960: 0AB34332
	v_mul_f32_e32 v90, v50, v162                               // 000000003964: 0AB54532
	v_mul_f32_e32 v91, v50, v163                               // 000000003968: 0AB74732
	v_mul_f32_e32 v92, v50, v164                               // 00000000396C: 0AB94932
	v_mul_f32_e32 v93, v50, v165                               // 000000003970: 0ABB4B32
	v_mul_f32_e32 v94, v50, v166                               // 000000003974: 0ABD4D32
	v_mul_f32_e32 v95, v50, v167                               // 000000003978: 0ABF4F32
	v_mul_f32_e32 v96, v50, v168                               // 00000000397C: 0AC15132
	v_mul_f32_e32 v97, v50, v169                               // 000000003980: 0AC35332
	v_mul_f32_e32 v98, v50, v170                               // 000000003984: 0AC55532
	v_mul_f32_e32 v99, v50, v171                               // 000000003988: 0AC75732
	v_mul_f32_e32 v100, v50, v172                              // 00000000398C: 0AC95932
	v_mul_f32_e32 v101, v50, v173                              // 000000003990: 0ACB5B32
	v_mul_f32_e32 v102, v50, v174                              // 000000003994: 0ACD5D32
	v_mul_f32_e32 v103, v50, v175                              // 000000003998: 0ACF5F32
	v_cvt_pk_fp8_f32 v88, v88, v89                             // 00000000399C: D2A20058 0002B358
	v_cvt_pk_fp8_f32 v88, v90, v91 op_sel:[0,0,1]              // 0000000039A4: D2A24058 0002B75A
	v_cvt_pk_fp8_f32 v89, v92, v93                             // 0000000039AC: D2A20059 0002BB5C
	v_cvt_pk_fp8_f32 v89, v94, v95 op_sel:[0,0,1]              // 0000000039B4: D2A24059 0002BF5E
	v_cvt_pk_fp8_f32 v90, v96, v97                             // 0000000039BC: D2A2005A 0002C360
	v_cvt_pk_fp8_f32 v90, v98, v99 op_sel:[0,0,1]              // 0000000039C4: D2A2405A 0002C762
	v_cvt_pk_fp8_f32 v91, v100, v101                           // 0000000039CC: D2A2005B 0002CB64
	v_cvt_pk_fp8_f32 v91, v102, v103 op_sel:[0,0,1]            // 0000000039D4: D2A2405B 0002CF66
	ds_write_b32 v13, v88 offset:6272                          // 0000000039DC: D81A1880 0000580D
	ds_write_b32 v13, v89 offset:7296                          // 0000000039E4: D81A1C80 0000590D
	ds_write_b32 v13, v90 offset:8320                          // 0000000039EC: D81A2080 00005A0D
	ds_write_b32 v13, v91 offset:9344                          // 0000000039F4: D81A2480 00005B0D
	v_mul_f32_e32 v104, v49, v104                              // 0000000039FC: 0AD0D131
	v_mul_f32_e32 v105, v49, v105                              // 000000003A00: 0AD2D331
	v_mul_f32_e32 v106, v49, v106                              // 000000003A04: 0AD4D531
	v_mul_f32_e32 v107, v49, v107                              // 000000003A08: 0AD6D731
	v_mul_f32_e32 v108, v49, v108                              // 000000003A0C: 0AD8D931
	v_mul_f32_e32 v109, v49, v109                              // 000000003A10: 0ADADB31
	v_mul_f32_e32 v110, v49, v110                              // 000000003A14: 0ADCDD31
	v_mul_f32_e32 v111, v49, v111                              // 000000003A18: 0ADEDF31
	v_rcp_f32_e32 v49, v50                                     // 000000003A1C: 7E624532
	s_waitcnt lgkmcnt(0)                                       // 000000003A20: BF8CC07F
	s_barrier                                                  // 000000003A24: BF8A0000
	ds_read_b64 v[88:89], v12 offset:6272                      // 000000003A28: D8EC1880 5800000C
	ds_read_b64 v[90:91], v12 offset:6400                      // 000000003A30: D8EC1900 5A00000C
	ds_read_b64 v[92:93], v12 offset:7296                      // 000000003A38: D8EC1C80 5C00000C
	ds_read_b64 v[94:95], v12 offset:7424                      // 000000003A40: D8EC1D00 5E00000C
	ds_read_b64 v[96:97], v12 offset:8320                      // 000000003A48: D8EC2080 6000000C
	ds_read_b64 v[98:99], v12 offset:8448                      // 000000003A50: D8EC2100 6200000C
	ds_read_b64 v[100:101], v12 offset:9344                    // 000000003A58: D8EC2480 6400000C
	ds_read_b64 v[102:103], v12 offset:9472                    // 000000003A60: D8EC2500 6600000C
	v_add_f32_e32 v112, v112, v104                             // 000000003A68: 02E0D170
	v_add_f32_e32 v113, v113, v105                             // 000000003A6C: 02E2D371
	v_add_f32_e32 v114, v114, v106                             // 000000003A70: 02E4D572
	v_add_f32_e32 v115, v115, v107                             // 000000003A74: 02E6D773
	v_add_f32_e32 v116, v116, v108                             // 000000003A78: 02E8D974
	v_add_f32_e32 v117, v117, v109                             // 000000003A7C: 02EADB75
	v_add_f32_e32 v118, v118, v110                             // 000000003A80: 02ECDD76
	v_add_f32_e32 v119, v119, v111                             // 000000003A84: 02EEDF77
	s_waitcnt vmcnt(15)                                        // 000000003A88: BF8C0F7F
	s_waitcnt lgkmcnt(7)                                       // 000000003A8C: BF8CC77F
	v_mfma_f32_16x16x32_fp8_fp8 v[104:107], v[224:225], v[88:89], 0// 000000003A90: D3F30068 0202B1E0
	s_waitcnt lgkmcnt(6)                                       // 000000003A98: BF8CC67F
	v_mfma_f32_16x16x32_fp8_fp8 v[104:107], v[226:227], v[90:91], v[104:107]// 000000003A9C: D3F30068 05A2B5E2
	buffer_load_dwordx4 v[208:211], v30, s[20:23], 0 offen offset:1024// 000000003AA4: E05C1400 8005D01E
	s_waitcnt lgkmcnt(5)                                       // 000000003AAC: BF8CC57F
	v_mfma_f32_16x16x32_fp8_fp8 v[104:107], v[228:229], v[92:93], v[104:107]// 000000003AB0: D3F30068 05A2B9E4
	s_waitcnt lgkmcnt(4)                                       // 000000003AB8: BF8CC47F
	v_mfma_f32_16x16x32_fp8_fp8 v[104:107], v[230:231], v[94:95], v[104:107]// 000000003ABC: D3F30068 05A2BDE6
	s_waitcnt lgkmcnt(3)                                       // 000000003AC4: BF8CC37F
	v_mfma_f32_16x16x32_fp8_fp8 v[104:107], v[232:233], v[96:97], v[104:107]// 000000003AC8: D3F30068 05A2C1E8
	s_waitcnt lgkmcnt(2)                                       // 000000003AD0: BF8CC27F
	v_mfma_f32_16x16x32_fp8_fp8 v[104:107], v[234:235], v[98:99], v[104:107]// 000000003AD4: D3F30068 05A2C5EA
	buffer_load_dwordx4 v[212:215], v31, s[20:23], 0 offen offset:1024// 000000003ADC: E05C1400 8005D41F
	s_waitcnt lgkmcnt(1)                                       // 000000003AE4: BF8CC17F
	v_mfma_f32_16x16x32_fp8_fp8 v[104:107], v[236:237], v[100:101], v[104:107]// 000000003AE8: D3F30068 05A2C9EC
	s_waitcnt lgkmcnt(0)                                       // 000000003AF0: BF8CC07F
	v_mfma_f32_16x16x32_fp8_fp8 v[104:107], v[238:239], v[102:103], v[104:107]// 000000003AF4: D3F30068 05A2CDEE
	v_mfma_f32_16x16x32_fp8_fp8 v[108:111], v[240:241], v[88:89], 0// 000000003AFC: D3F3006C 0202B1F0
	v_mfma_f32_16x16x32_fp8_fp8 v[108:111], v[242:243], v[90:91], v[108:111]// 000000003B04: D3F3006C 05B2B5F2
	buffer_load_dwordx4 v[216:219], v32, s[20:23], 0 offen offset:1024// 000000003B0C: E05C1400 8005D820
	v_mfma_f32_16x16x32_fp8_fp8 v[108:111], v[244:245], v[92:93], v[108:111]// 000000003B14: D3F3006C 05B2B9F4
	v_mfma_f32_16x16x32_fp8_fp8 v[108:111], v[246:247], v[94:95], v[108:111]// 000000003B1C: D3F3006C 05B2BDF6
	v_mfma_f32_16x16x32_fp8_fp8 v[108:111], v[248:249], v[96:97], v[108:111]// 000000003B24: D3F3006C 05B2C1F8
	v_mfma_f32_16x16x32_fp8_fp8 v[108:111], v[250:251], v[98:99], v[108:111]// 000000003B2C: D3F3006C 05B2C5FA
	buffer_load_dwordx4 v[220:223], v33, s[20:23], 0 offen offset:1024// 000000003B34: E05C1400 8005DC21
	v_mfma_f32_16x16x32_fp8_fp8 v[108:111], v[252:253], v[100:101], v[108:111]// 000000003B3C: D3F3006C 05B2C9FC
	s_lshr_b32 s57, s70, 4                                     // 000000003B44: 8F398446
	s_add_u32 s57, 48, s57                                     // 000000003B48: 803939B0
	v_mfma_f32_16x16x32_fp8_fp8 v[108:111], v[254:255], v[102:103], v[108:111]// 000000003B4C: D3F3006C 05B2CDFE
	s_cmp_ge_u32 s57, s73                                      // 000000003B54: BF094939
	s_cselect_b32 s56, 0, s56                                  // 000000003B58: 85383880
	v_add_u32_e32 v1, s56, v1                                  // 000000003B5C: 68020238
	s_addk_i32 s70, 0x100                                      // 000000003B60: B7460100
	s_cmp_lt_i32 s70, s71                                      // 000000003B64: BF044746
	s_cbranch_scc0 label_069C                                  // 000000003B68: BF840001
	s_branch label_0203                                        // 000000003B6C: BF82FB67

0000000000003b70 <label_069C>:
	s_nop 0                                                    // 000000003B70: BF800000
	s_nop 0                                                    // 000000003B74: BF800000
	s_branch label_0B38                                        // 000000003B78: BF820499

0000000000003b7c <label_069F>:
	s_waitcnt vmcnt(8) lgkmcnt(0)                              // 000000003B7C: BF8C0078
	v_mul_u32_u24_dpp v38, v17, v53 row_newbcast:0 row_mask:0xf bank_mask:0xf// 000000003B80: 104C6AFA FF015011
	v_mul_u32_u24_dpp v39, v17, v53 row_newbcast:4 row_mask:0xf bank_mask:0xf// 000000003B88: 104E6AFA FF015411
	v_mul_u32_u24_dpp v40, v17, v53 row_newbcast:8 row_mask:0xf bank_mask:0xf// 000000003B90: 10506AFA FF015811
	v_mul_u32_u24_dpp v41, v17, v53 row_newbcast:12 row_mask:0xf bank_mask:0xf// 000000003B98: 10526AFA FF015C11
	v_add_u32_e32 v26, v38, v6                                 // 000000003BA0: 68340D26
	v_add_u32_e32 v27, v39, v6                                 // 000000003BA4: 68360D27
	v_add_u32_e32 v28, v40, v6                                 // 000000003BA8: 68380D28
	v_add_u32_e32 v29, v41, v6                                 // 000000003BAC: 683A0D29
	v_mul_u32_u24_dpp v38, v17, v63 quad_perm:[0,0,0,0] row_mask:0xf bank_mask:0xf// 000000003BB0: 104C7EFA FF000011
	v_add_u32_e32 v3, v38, v59                                 // 000000003BB8: 68067726
	v_mul_u32_u24_dpp v38, v17, v63 quad_perm:[0,0,0,0] row_mask:0xf bank_mask:0xf// 000000003BBC: 104C7EFA FF000011
	v_add_u32_e32 v56, v38, v60                                // 000000003BC4: 68707926
	v_mfma_f32_16x16x32_fp8_fp8 v[88:91], v[128:129], v[80:81], 0// 000000003BC8: D3F30058 0202A180
	buffer_load_dwordx4 v[160:163], v26, s[16:19], 0 offen     // 000000003BD0: E05C1000 8004A01A
	v_mfma_f32_16x16x32_fp8_fp8 v[88:91], v[130:131], v[82:83], v[88:91]// 000000003BD8: D3F30058 0562A582
	v_mfma_f32_16x16x32_fp8_fp8 v[88:91], v[132:133], v[84:85], v[88:91]// 000000003BE0: D3F30058 0562A984
	buffer_load_dword v16, v1, s[24:27], 0 offen               // 000000003BE8: E0501000 80061001
	v_mfma_f32_16x16x32_fp8_fp8 v[88:91], v[134:135], v[86:87], v[88:91]// 000000003BF0: D3F30058 0562AD86
	v_mfma_f32_16x16x32_fp8_fp8 v[92:95], v[136:137], v[80:81], 0// 000000003BF8: D3F3005C 0202A188
	buffer_load_dwordx4 v[164:167], v26, s[16:19], 0 offen offset:1024// 000000003C00: E05C1400 8004A41A
	v_mfma_f32_16x16x32_fp8_fp8 v[92:95], v[138:139], v[82:83], v[92:95]// 000000003C08: D3F3005C 0572A58A
	v_mfma_f32_16x16x32_fp8_fp8 v[92:95], v[140:141], v[84:85], v[92:95]// 000000003C10: D3F3005C 0572A98C
	v_mfma_f32_16x16x32_fp8_fp8 v[92:95], v[142:143], v[86:87], v[92:95]// 000000003C18: D3F3005C 0572AD8E
	v_mfma_f32_16x16x32_fp8_fp8 v[96:99], v[144:145], v[80:81], 0// 000000003C20: D3F30060 0202A190
	buffer_load_dwordx4 v[168:171], v27, s[16:19], 0 offen     // 000000003C28: E05C1000 8004A81B
	v_mfma_f32_16x16x32_fp8_fp8 v[96:99], v[146:147], v[82:83], v[96:99]// 000000003C30: D3F30060 0582A592
	v_mfma_f32_16x16x32_fp8_fp8 v[96:99], v[148:149], v[84:85], v[96:99]// 000000003C38: D3F30060 0582A994
	v_mfma_f32_16x16x32_fp8_fp8 v[96:99], v[150:151], v[86:87], v[96:99]// 000000003C40: D3F30060 0582AD96
	v_mfma_f32_16x16x32_fp8_fp8 v[100:103], v[152:153], v[80:81], 0// 000000003C48: D3F30064 0202A198
	buffer_load_dwordx4 v[172:175], v27, s[16:19], 0 offen offset:1024// 000000003C50: E05C1400 8004AC1B
	v_mfma_f32_16x16x32_fp8_fp8 v[100:103], v[154:155], v[82:83], v[100:103]// 000000003C58: D3F30064 0592A59A
	v_mfma_f32_16x16x32_fp8_fp8 v[100:103], v[156:157], v[84:85], v[100:103]// 000000003C60: D3F30064 0592A99C
	v_mfma_f32_16x16x32_fp8_fp8 v[100:103], v[158:159], v[86:87], v[100:103]// 000000003C68: D3F30064 0592AD9E
	buffer_load_dword v47, v3, s[32:35], 0 offen               // 000000003C70: E0501000 80082F03
	v_mov_b32_dpp v38, v46 row_shr:4 row_mask:0xf bank_mask:0xf// 000000003C78: 7E4C02FA FF01142E
	v_mov_b32_dpp v39, v46 row_shl:4 row_mask:0xf bank_mask:0xf// 000000003C80: 7E4E02FA FF01042E
	v_cndmask_b32_e64 v120, v46, v38, s[44:45]                 // 000000003C88: D1000078 00B24D2E
	v_cndmask_b32_e64 v121, v39, v46, s[44:45]                 // 000000003C90: D1000079 00B25D27
	v_mov_b32_dpp v38, v120 row_shr:8 row_mask:0xf bank_mask:0xf// 000000003C98: 7E4C02FA FF011878
	v_mov_b32_dpp v39, v120 row_shl:8 row_mask:0xf bank_mask:0xf// 000000003CA0: 7E4E02FA FF010878
	v_mov_b32_dpp v40, v121 row_shr:8 row_mask:0xf bank_mask:0xf// 000000003CA8: 7E5002FA FF011879
	v_mov_b32_dpp v41, v121 row_shl:8 row_mask:0xf bank_mask:0xf// 000000003CB0: 7E5202FA FF010879
	v_mov_b32_e32 v42, v120                                    // 000000003CB8: 7E540378
	v_mov_b32_e32 v43, v121                                    // 000000003CBC: 7E560379
	v_cndmask_b32_e64 v120, v42, v38, s[42:43]                 // 000000003CC0: D1000078 00AA4D2A
	v_cndmask_b32_e64 v122, v42, v39, s[78:79]                 // 000000003CC8: D100007A 013A4F2A
	v_cndmask_b32_e64 v121, v43, v40, s[42:43]                 // 000000003CD0: D1000079 00AA512B
	v_cndmask_b32_e64 v123, v43, v41, s[78:79]                 // 000000003CD8: D100007B 013A532B
	v_mov_b32_dpp v38, v57 row_shr:4 row_mask:0xf bank_mask:0xf// 000000003CE0: 7E4C02FA FF011439
	v_mov_b32_dpp v39, v57 row_shl:4 row_mask:0xf bank_mask:0xf// 000000003CE8: 7E4E02FA FF010439
	v_cndmask_b32_e64 v124, v57, v38, s[44:45]                 // 000000003CF0: D100007C 00B24D39
	v_cndmask_b32_e64 v125, v39, v57, s[44:45]                 // 000000003CF8: D100007D 00B27327
	v_mov_b32_dpp v38, v124 row_shr:8 row_mask:0xf bank_mask:0xf// 000000003D00: 7E4C02FA FF01187C
	v_mov_b32_dpp v39, v124 row_shl:8 row_mask:0xf bank_mask:0xf// 000000003D08: 7E4E02FA FF01087C
	v_mov_b32_dpp v40, v125 row_shr:8 row_mask:0xf bank_mask:0xf// 000000003D10: 7E5002FA FF01187D
	v_mov_b32_dpp v41, v125 row_shl:8 row_mask:0xf bank_mask:0xf// 000000003D18: 7E5202FA FF01087D
	v_mov_b32_e32 v42, v124                                    // 000000003D20: 7E54037C
	v_mov_b32_e32 v43, v125                                    // 000000003D24: 7E56037D
	v_cndmask_b32_e64 v124, v42, v38, s[42:43]                 // 000000003D28: D100007C 00AA4D2A
	v_cndmask_b32_e64 v126, v42, v39, s[78:79]                 // 000000003D30: D100007E 013A4F2A
	v_cndmask_b32_e64 v125, v43, v40, s[42:43]                 // 000000003D38: D100007D 00AA512B
	v_cndmask_b32_e64 v127, v43, v41, s[78:79]                 // 000000003D40: D100007F 013A532B
	buffer_load_dword v58, v56, s[36:39], 0 offen              // 000000003D48: E0501000 80093A38
	v_mul_f32_e32 v88, v48, v88                                // 000000003D50: 0AB0B130
	v_mul_f32_e32 v89, v48, v89                                // 000000003D54: 0AB2B330
	v_mul_f32_e32 v90, v48, v90                                // 000000003D58: 0AB4B530
	v_mul_f32_e32 v91, v48, v91                                // 000000003D5C: 0AB6B730
	v_mul_f32_e32 v92, v48, v92                                // 000000003D60: 0AB8B930
	v_mul_f32_e32 v93, v48, v93                                // 000000003D64: 0ABABB30
	v_mul_f32_e32 v94, v48, v94                                // 000000003D68: 0ABCBD30
	v_mul_f32_e32 v95, v48, v95                                // 000000003D6C: 0ABEBF30
	v_mul_f32_e32 v96, v48, v96                                // 000000003D70: 0AC0C130
	v_mul_f32_e32 v97, v48, v97                                // 000000003D74: 0AC2C330
	v_mul_f32_e32 v98, v48, v98                                // 000000003D78: 0AC4C530
	v_mul_f32_e32 v99, v48, v99                                // 000000003D7C: 0AC6C730
	v_mul_f32_e32 v100, v48, v100                              // 000000003D80: 0AC8C930
	v_mul_f32_e32 v101, v48, v101                              // 000000003D84: 0ACACB30
	v_mul_f32_e32 v102, v48, v102                              // 000000003D88: 0ACCCD30
	v_mul_f32_e32 v103, v48, v103                              // 000000003D8C: 0ACECF30
	buffer_load_dwordx4 v[176:179], v28, s[16:19], 0 offen     // 000000003D90: E05C1000 8004B01C
	v_mul_f32_dpp v88, v120, v88 quad_perm:[0,0,0,0] row_mask:0xf bank_mask:0xf// 000000003D98: 0AB0B0FA FF000078
	v_mul_f32_dpp v89, v120, v89 quad_perm:[1,1,1,1] row_mask:0xf bank_mask:0xf// 000000003DA0: 0AB2B2FA FF005578
	v_mul_f32_dpp v90, v120, v90 quad_perm:[2,2,2,2] row_mask:0xf bank_mask:0xf// 000000003DA8: 0AB4B4FA FF00AA78
	v_mul_f32_dpp v91, v120, v91 quad_perm:[3,3,3,3] row_mask:0xf bank_mask:0xf// 000000003DB0: 0AB6B6FA FF00FF78
	v_mul_f32_dpp v92, v121, v92 quad_perm:[0,0,0,0] row_mask:0xf bank_mask:0xf// 000000003DB8: 0AB8B8FA FF000079
	v_mul_f32_dpp v93, v121, v93 quad_perm:[1,1,1,1] row_mask:0xf bank_mask:0xf// 000000003DC0: 0ABABAFA FF005579
	v_mul_f32_dpp v94, v121, v94 quad_perm:[2,2,2,2] row_mask:0xf bank_mask:0xf// 000000003DC8: 0ABCBCFA FF00AA79
	v_mul_f32_dpp v95, v121, v95 quad_perm:[3,3,3,3] row_mask:0xf bank_mask:0xf// 000000003DD0: 0ABEBEFA FF00FF79
	v_mul_f32_dpp v96, v122, v96 quad_perm:[0,0,0,0] row_mask:0xf bank_mask:0xf// 000000003DD8: 0AC0C0FA FF00007A
	v_mul_f32_dpp v97, v122, v97 quad_perm:[1,1,1,1] row_mask:0xf bank_mask:0xf// 000000003DE0: 0AC2C2FA FF00557A
	v_mul_f32_dpp v98, v122, v98 quad_perm:[2,2,2,2] row_mask:0xf bank_mask:0xf// 000000003DE8: 0AC4C4FA FF00AA7A
	v_mul_f32_dpp v99, v122, v99 quad_perm:[3,3,3,3] row_mask:0xf bank_mask:0xf// 000000003DF0: 0AC6C6FA FF00FF7A
	v_mul_f32_dpp v100, v123, v100 quad_perm:[0,0,0,0] row_mask:0xf bank_mask:0xf// 000000003DF8: 0AC8C8FA FF00007B
	v_mul_f32_dpp v101, v123, v101 quad_perm:[1,1,1,1] row_mask:0xf bank_mask:0xf// 000000003E00: 0ACACAFA FF00557B
	v_mul_f32_dpp v102, v123, v102 quad_perm:[2,2,2,2] row_mask:0xf bank_mask:0xf// 000000003E08: 0ACCCCFA FF00AA7B
	v_mul_f32_dpp v103, v123, v103 quad_perm:[3,3,3,3] row_mask:0xf bank_mask:0xf// 000000003E10: 0ACECEFA FF00FF7B
	buffer_load_dwordx4 v[180:183], v28, s[16:19], 0 offen offset:1024// 000000003E18: E05C1400 8004B41C
	v_mov_b32_e32 v50, v88                                     // 000000003E20: 7E640358
	v_max3_f32 v50, v88, v89, v50                              // 000000003E24: D1D30032 04CAB358
	v_max3_f32 v50, v90, v91, v50                              // 000000003E2C: D1D30032 04CAB75A
	v_max3_f32 v50, v92, v93, v50                              // 000000003E34: D1D30032 04CABB5C
	v_max3_f32 v50, v94, v95, v50                              // 000000003E3C: D1D30032 04CABF5E
	v_max3_f32 v50, v96, v97, v50                              // 000000003E44: D1D30032 04CAC360
	v_max3_f32 v50, v98, v99, v50                              // 000000003E4C: D1D30032 04CAC762
	v_max3_f32 v50, v100, v101, v50                            // 000000003E54: D1D30032 04CACB64
	v_max3_f32 v50, v102, v103, v50                            // 000000003E5C: D1D30032 04CACF66
	ds_write_b32 v11, v50 offset:4224                          // 000000003E64: D81A1080 0000320B
	buffer_load_dwordx4 v[184:187], v29, s[16:19], 0 offen     // 000000003E6C: E05C1000 8004B81D
	v_mul_u32_u24_dpp v38, v17, v53 row_newbcast:1 row_mask:0xf bank_mask:0xf// 000000003E74: 104C6AFA FF015111
	v_mul_u32_u24_dpp v39, v17, v53 row_newbcast:5 row_mask:0xf bank_mask:0xf// 000000003E7C: 104E6AFA FF015511
	v_mul_u32_u24_dpp v40, v17, v53 row_newbcast:9 row_mask:0xf bank_mask:0xf// 000000003E84: 10506AFA FF015911
	v_mul_u32_u24_dpp v41, v17, v53 row_newbcast:13 row_mask:0xf bank_mask:0xf// 000000003E8C: 10526AFA FF015D11
	v_add_u32_e32 v34, v38, v7                                 // 000000003E94: 68440F26
	v_add_u32_e32 v35, v39, v7                                 // 000000003E98: 68460F27
	v_add_u32_e32 v36, v40, v7                                 // 000000003E9C: 68480F28
	v_add_u32_e32 v37, v41, v7                                 // 000000003EA0: 684A0F29
	s_waitcnt lgkmcnt(0)                                       // 000000003EA4: BF8CC07F
	s_barrier                                                  // 000000003EA8: BF8A0000
	ds_read_b32 v64, v10 offset:4224                           // 000000003EAC: D86C1080 4000000A
	ds_read_b32 v65, v10 offset:4288                           // 000000003EB4: D86C10C0 4100000A
	ds_read_b32 v66, v10 offset:4352                           // 000000003EBC: D86C1100 4200000A
	ds_read_b32 v67, v10 offset:4416                           // 000000003EC4: D86C1140 4300000A
	ds_read_b32 v68, v10 offset:4480                           // 000000003ECC: D86C1180 4400000A
	ds_read_b32 v69, v10 offset:4544                           // 000000003ED4: D86C11C0 4500000A
	ds_read_b32 v70, v10 offset:4608                           // 000000003EDC: D86C1200 4600000A
	ds_read_b32 v71, v10 offset:4672                           // 000000003EE4: D86C1240 4700000A
	ds_read_b32 v72, v10 offset:4736                           // 000000003EEC: D86C1280 4800000A
	ds_read_b32 v73, v10 offset:4800                           // 000000003EF4: D86C12C0 4900000A
	ds_read_b32 v74, v10 offset:4864                           // 000000003EFC: D86C1300 4A00000A
	ds_read_b32 v75, v10 offset:4928                           // 000000003F04: D86C1340 4B00000A
	ds_read_b32 v76, v10 offset:4992                           // 000000003F0C: D86C1380 4C00000A
	ds_read_b32 v77, v10 offset:5056                           // 000000003F14: D86C13C0 4D00000A
	ds_read_b32 v78, v10 offset:5120                           // 000000003F1C: D86C1400 4E00000A
	ds_read_b32 v79, v10 offset:5184                           // 000000003F24: D86C1440 4F00000A
	buffer_load_dwordx4 v[188:191], v29, s[16:19], 0 offen offset:1024// 000000003F2C: E05C1400 8004BC1D
	v_mul_f32_e32 v112, v51, v112                              // 000000003F34: 0AE0E133
	v_mul_f32_e32 v113, v51, v113                              // 000000003F38: 0AE2E333
	v_mul_f32_e32 v114, v51, v114                              // 000000003F3C: 0AE4E533
	v_mul_f32_e32 v115, v51, v115                              // 000000003F40: 0AE6E733
	v_mul_f32_e32 v116, v51, v116                              // 000000003F44: 0AE8E933
	v_mul_f32_e32 v117, v51, v117                              // 000000003F48: 0AEAEB33
	v_mul_f32_e32 v118, v51, v118                              // 000000003F4C: 0AECED33
	v_mul_f32_e32 v119, v51, v119                              // 000000003F50: 0AEEEF33
	s_waitcnt lgkmcnt(0)                                       // 000000003F54: BF8CC07F
	v_max3_f32 v50, v64, v65, v50                              // 000000003F58: D1D30032 04CA8340
	v_max3_f32 v50, v66, v67, v50                              // 000000003F60: D1D30032 04CA8742
	v_max3_f32 v50, v68, v69, v50                              // 000000003F68: D1D30032 04CA8B44
	v_max3_f32 v50, v70, v71, v50                              // 000000003F70: D1D30032 04CA8F46
	v_max3_f32 v50, v72, v73, v50                              // 000000003F78: D1D30032 04CA9348
	v_max3_f32 v50, v74, v75, v50                              // 000000003F80: D1D30032 04CA974A
	v_max3_f32 v50, v76, v77, v50                              // 000000003F88: D1D30032 04CA9B4C
	v_max3_f32 v50, v78, v79, v50                              // 000000003F90: D1D30032 04CA9F4E
	buffer_load_dwordx4 v[224:227], v34, s[20:23], 0 offen     // 000000003F98: E05C1000 8005E022
	v_cmp_eq_u32_e64 s[40:41], v54, v14                        // 000000003FA0: D0CA0028 00021D36
	s_nop 1                                                    // 000000003FA8: BF800001
	v_max_f32_e32 v15, v50, v14                                // 000000003FAC: 161E1D32
	v_mul_f32_e32 v52, s64, v15                                // 000000003FB0: 0A681E40
	v_fma_f32 v88, v88, s64, -v52                              // 000000003FB4: D1CB0058 84D08158
	v_fma_f32 v89, v89, s64, -v52                              // 000000003FBC: D1CB0059 84D08159
	v_fma_f32 v90, v90, s64, -v52                              // 000000003FC4: D1CB005A 84D0815A
	v_fma_f32 v91, v91, s64, -v52                              // 000000003FCC: D1CB005B 84D0815B
	v_fma_f32 v92, v92, s64, -v52                              // 000000003FD4: D1CB005C 84D0815C
	v_fma_f32 v93, v93, s64, -v52                              // 000000003FDC: D1CB005D 84D0815D
	v_fma_f32 v94, v94, s64, -v52                              // 000000003FE4: D1CB005E 84D0815E
	v_fma_f32 v95, v95, s64, -v52                              // 000000003FEC: D1CB005F 84D0815F
	v_fma_f32 v96, v96, s64, -v52                              // 000000003FF4: D1CB0060 84D08160
	v_fma_f32 v97, v97, s64, -v52                              // 000000003FFC: D1CB0061 84D08161
	v_fma_f32 v98, v98, s64, -v52                              // 000000004004: D1CB0062 84D08162
	v_fma_f32 v99, v99, s64, -v52                              // 00000000400C: D1CB0063 84D08163
	v_fma_f32 v100, v100, s64, -v52                            // 000000004014: D1CB0064 84D08164
	v_fma_f32 v101, v101, s64, -v52                            // 00000000401C: D1CB0065 84D08165
	v_fma_f32 v102, v102, s64, -v52                            // 000000004024: D1CB0066 84D08166
	v_fma_f32 v103, v103, s64, -v52                            // 00000000402C: D1CB0067 84D08167
	buffer_load_dwordx4 v[228:231], v35, s[20:23], 0 offen     // 000000004034: E05C1000 8005E423
	v_exp_f32_e32 v88, v88                                     // 00000000403C: 7EB04158
	v_exp_f32_e32 v89, v89                                     // 000000004040: 7EB24159
	v_exp_f32_e32 v90, v90                                     // 000000004044: 7EB4415A
	v_exp_f32_e32 v91, v91                                     // 000000004048: 7EB6415B
	v_exp_f32_e32 v92, v92                                     // 00000000404C: 7EB8415C
	v_exp_f32_e32 v93, v93                                     // 000000004050: 7EBA415D
	v_exp_f32_e32 v94, v94                                     // 000000004054: 7EBC415E
	v_exp_f32_e32 v95, v95                                     // 000000004058: 7EBE415F
	v_exp_f32_e32 v96, v96                                     // 00000000405C: 7EC04160
	v_exp_f32_e32 v97, v97                                     // 000000004060: 7EC24161
	v_exp_f32_e32 v98, v98                                     // 000000004064: 7EC44162
	v_exp_f32_e32 v99, v99                                     // 000000004068: 7EC64163
	v_exp_f32_e32 v100, v100                                   // 00000000406C: 7EC84164
	v_exp_f32_e32 v101, v101                                   // 000000004070: 7ECA4165
	v_exp_f32_e32 v102, v102                                   // 000000004074: 7ECC4166
	v_exp_f32_e32 v103, v103                                   // 000000004078: 7ECE4167
	buffer_load_dwordx4 v[232:235], v36, s[20:23], 0 offen     // 00000000407C: E05C1000 8005E824
	v_mul_f32_dpp v128, v124, v88 quad_perm:[0,0,0,0] row_mask:0xf bank_mask:0xf// 000000004084: 0B00B0FA FF00007C
	v_mul_f32_dpp v129, v124, v89 quad_perm:[1,1,1,1] row_mask:0xf bank_mask:0xf// 00000000408C: 0B02B2FA FF00557C
	v_mul_f32_dpp v130, v124, v90 quad_perm:[2,2,2,2] row_mask:0xf bank_mask:0xf// 000000004094: 0B04B4FA FF00AA7C
	v_mul_f32_dpp v131, v124, v91 quad_perm:[3,3,3,3] row_mask:0xf bank_mask:0xf// 00000000409C: 0B06B6FA FF00FF7C
	v_mul_f32_dpp v132, v125, v92 quad_perm:[0,0,0,0] row_mask:0xf bank_mask:0xf// 0000000040A4: 0B08B8FA FF00007D
	v_mul_f32_dpp v133, v125, v93 quad_perm:[1,1,1,1] row_mask:0xf bank_mask:0xf// 0000000040AC: 0B0ABAFA FF00557D
	v_mul_f32_dpp v134, v125, v94 quad_perm:[2,2,2,2] row_mask:0xf bank_mask:0xf// 0000000040B4: 0B0CBCFA FF00AA7D
	v_mul_f32_dpp v135, v125, v95 quad_perm:[3,3,3,3] row_mask:0xf bank_mask:0xf// 0000000040BC: 0B0EBEFA FF00FF7D
	v_mul_f32_dpp v136, v126, v96 quad_perm:[0,0,0,0] row_mask:0xf bank_mask:0xf// 0000000040C4: 0B10C0FA FF00007E
	v_mul_f32_dpp v137, v126, v97 quad_perm:[1,1,1,1] row_mask:0xf bank_mask:0xf// 0000000040CC: 0B12C2FA FF00557E
	v_mul_f32_dpp v138, v126, v98 quad_perm:[2,2,2,2] row_mask:0xf bank_mask:0xf// 0000000040D4: 0B14C4FA FF00AA7E
	v_mul_f32_dpp v139, v126, v99 quad_perm:[3,3,3,3] row_mask:0xf bank_mask:0xf// 0000000040DC: 0B16C6FA FF00FF7E
	v_mul_f32_dpp v140, v127, v100 quad_perm:[0,0,0,0] row_mask:0xf bank_mask:0xf// 0000000040E4: 0B18C8FA FF00007F
	v_mul_f32_dpp v141, v127, v101 quad_perm:[1,1,1,1] row_mask:0xf bank_mask:0xf// 0000000040EC: 0B1ACAFA FF00557F
	v_mul_f32_dpp v142, v127, v102 quad_perm:[2,2,2,2] row_mask:0xf bank_mask:0xf// 0000000040F4: 0B1CCCFA FF00AA7F
	v_mul_f32_dpp v143, v127, v103 quad_perm:[3,3,3,3] row_mask:0xf bank_mask:0xf// 0000000040FC: 0B1ECEFA FF00FF7F
	v_mov_b32_e32 v50, 0x358637bd                              // 000000004104: 7E6402FF 358637BD
	v_max3_f32 v50, |v128|, |v129|, v50                        // 00000000410C: D1D30332 04CB0380
	v_max3_f32 v50, |v130|, |v131|, v50                        // 000000004114: D1D30332 04CB0782
	v_max3_f32 v50, |v132|, |v133|, v50                        // 00000000411C: D1D30332 04CB0B84
	v_max3_f32 v50, |v134|, |v135|, v50                        // 000000004124: D1D30332 04CB0F86
	v_max3_f32 v50, |v136|, |v137|, v50                        // 00000000412C: D1D30332 04CB1388
	v_max3_f32 v50, |v138|, |v139|, v50                        // 000000004134: D1D30332 04CB178A
	v_max3_f32 v50, |v140|, |v141|, v50                        // 00000000413C: D1D30332 04CB1B8C
	v_max3_f32 v50, |v142|, |v143|, v50                        // 000000004144: D1D30332 04CB1F8E
	buffer_load_dwordx4 v[236:239], v37, s[20:23], 0 offen     // 00000000414C: E05C1000 8005EC25
	ds_write_b32 v11, v50 offset:5248                          // 000000004154: D81A1480 0000320B
	v_sub_f32_e32 v51, v14, v15                                // 00000000415C: 04661F0E
	v_cndmask_b32_e64 v51, v51, 0, s[40:41]                    // 000000004160: D1000033 00A10133
	v_mov_b32_e32 v14, v15                                     // 000000004168: 7E1C030F
	v_mul_f32_e32 v51, s64, v51                                // 00000000416C: 0A666640
	v_exp_f32_e32 v51, v51                                     // 000000004170: 7E664133
	s_waitcnt lgkmcnt(0)                                       // 000000004174: BF8CC07F
	s_barrier                                                  // 000000004178: BF8A0000
	ds_read_b32 v64, v10 offset:5248                           // 00000000417C: D86C1480 4000000A
	ds_read_b32 v65, v10 offset:5312                           // 000000004184: D86C14C0 4100000A
	ds_read_b32 v66, v10 offset:5376                           // 00000000418C: D86C1500 4200000A
	ds_read_b32 v67, v10 offset:5440                           // 000000004194: D86C1540 4300000A
	ds_read_b32 v68, v10 offset:5504                           // 00000000419C: D86C1580 4400000A
	ds_read_b32 v69, v10 offset:5568                           // 0000000041A4: D86C15C0 4500000A
	ds_read_b32 v70, v10 offset:5632                           // 0000000041AC: D86C1600 4600000A
	ds_read_b32 v71, v10 offset:5696                           // 0000000041B4: D86C1640 4700000A
	ds_read_b32 v72, v10 offset:5760                           // 0000000041BC: D86C1680 4800000A
	ds_read_b32 v73, v10 offset:5824                           // 0000000041C4: D86C16C0 4900000A
	ds_read_b32 v74, v10 offset:5888                           // 0000000041CC: D86C1700 4A00000A
	ds_read_b32 v75, v10 offset:5952                           // 0000000041D4: D86C1740 4B00000A
	ds_read_b32 v76, v10 offset:6016                           // 0000000041DC: D86C1780 4C00000A
	ds_read_b32 v77, v10 offset:6080                           // 0000000041E4: D86C17C0 4D00000A
	ds_read_b32 v78, v10 offset:6144                           // 0000000041EC: D86C1800 4E00000A
	ds_read_b32 v79, v10 offset:6208                           // 0000000041F4: D86C1840 4F00000A
	v_mul_f32_e32 v44, v51, v44                                // 0000000041FC: 0A585933
	v_mov_b32_e32 v45, v88                                     // 000000004200: 7E5A0358
	v_add_f32_e32 v45, v89, v45                                // 000000004204: 025A5B59
	v_add_f32_e32 v45, v90, v45                                // 000000004208: 025A5B5A
	v_add_f32_e32 v45, v91, v45                                // 00000000420C: 025A5B5B
	v_add_f32_e32 v45, v92, v45                                // 000000004210: 025A5B5C
	v_add_f32_e32 v45, v93, v45                                // 000000004214: 025A5B5D
	v_add_f32_e32 v45, v94, v45                                // 000000004218: 025A5B5E
	v_add_f32_e32 v45, v95, v45                                // 00000000421C: 025A5B5F
	v_add_f32_e32 v45, v96, v45                                // 000000004220: 025A5B60
	v_add_f32_e32 v45, v97, v45                                // 000000004224: 025A5B61
	v_add_f32_e32 v45, v98, v45                                // 000000004228: 025A5B62
	v_add_f32_e32 v45, v99, v45                                // 00000000422C: 025A5B63
	v_add_f32_e32 v45, v100, v45                               // 000000004230: 025A5B64
	v_add_f32_e32 v45, v101, v45                               // 000000004234: 025A5B65
	v_add_f32_e32 v45, v102, v45                               // 000000004238: 025A5B66
	v_add_f32_e32 v45, v103, v45                               // 00000000423C: 025A5B67
	v_add_f32_e32 v44, v45, v44                                // 000000004240: 0258592D
	s_waitcnt lgkmcnt(0)                                       // 000000004244: BF8CC07F
	v_max3_f32 v50, |v64|, |v65|, v50                          // 000000004248: D1D30332 04CA8340
	v_max3_f32 v50, |v66|, |v67|, v50                          // 000000004250: D1D30332 04CA8742
	v_max3_f32 v50, |v68|, |v69|, v50                          // 000000004258: D1D30332 04CA8B44
	v_max3_f32 v50, |v70|, |v71|, v50                          // 000000004260: D1D30332 04CA8F46
	v_max3_f32 v50, |v72|, |v73|, v50                          // 000000004268: D1D30332 04CA9348
	v_max3_f32 v50, |v74|, |v75|, v50                          // 000000004270: D1D30332 04CA974A
	v_max3_f32 v50, |v76|, |v77|, v50                          // 000000004278: D1D30332 04CA9B4C
	v_max3_f32 v50, |v78|, |v79|, v50                          // 000000004280: D1D30332 04CA9F4E
	s_nop 2                                                    // 000000004288: BF800002
	v_rcp_f32_e32 v50, v50                                     // 00000000428C: 7E644532
	s_nop 1                                                    // 000000004290: BF800001
	v_mul_f32_e32 v50, 0x43700000, v50                         // 000000004294: 0A6464FF 43700000
	v_mul_f32_e32 v88, v50, v128                               // 00000000429C: 0AB10132
	v_mul_f32_e32 v89, v50, v129                               // 0000000042A0: 0AB30332
	v_mul_f32_e32 v90, v50, v130                               // 0000000042A4: 0AB50532
	v_mul_f32_e32 v91, v50, v131                               // 0000000042A8: 0AB70732
	v_mul_f32_e32 v92, v50, v132                               // 0000000042AC: 0AB90932
	v_mul_f32_e32 v93, v50, v133                               // 0000000042B0: 0ABB0B32
	v_mul_f32_e32 v94, v50, v134                               // 0000000042B4: 0ABD0D32
	v_mul_f32_e32 v95, v50, v135                               // 0000000042B8: 0ABF0F32
	v_mul_f32_e32 v96, v50, v136                               // 0000000042BC: 0AC11132
	v_mul_f32_e32 v97, v50, v137                               // 0000000042C0: 0AC31332
	v_mul_f32_e32 v98, v50, v138                               // 0000000042C4: 0AC51532
	v_mul_f32_e32 v99, v50, v139                               // 0000000042C8: 0AC71732
	v_mul_f32_e32 v100, v50, v140                              // 0000000042CC: 0AC91932
	v_mul_f32_e32 v101, v50, v141                              // 0000000042D0: 0ACB1B32
	v_mul_f32_e32 v102, v50, v142                              // 0000000042D4: 0ACD1D32
	v_mul_f32_e32 v103, v50, v143                              // 0000000042D8: 0ACF1F32
	v_cvt_pk_fp8_f32 v88, v88, v89                             // 0000000042DC: D2A20058 0002B358
	v_cvt_pk_fp8_f32 v88, v90, v91 op_sel:[0,0,1]              // 0000000042E4: D2A24058 0002B75A
	v_cvt_pk_fp8_f32 v89, v92, v93                             // 0000000042EC: D2A20059 0002BB5C
	v_cvt_pk_fp8_f32 v89, v94, v95 op_sel:[0,0,1]              // 0000000042F4: D2A24059 0002BF5E
	v_cvt_pk_fp8_f32 v90, v96, v97                             // 0000000042FC: D2A2005A 0002C360
	v_cvt_pk_fp8_f32 v90, v98, v99 op_sel:[0,0,1]              // 000000004304: D2A2405A 0002C762
	v_cvt_pk_fp8_f32 v91, v100, v101                           // 00000000430C: D2A2005B 0002CB64
	v_cvt_pk_fp8_f32 v91, v102, v103 op_sel:[0,0,1]            // 000000004314: D2A2405B 0002CF66
	ds_write_b32 v13, v88 offset:6272                          // 00000000431C: D81A1880 0000580D
	ds_write_b32 v13, v89 offset:7296                          // 000000004324: D81A1C80 0000590D
	ds_write_b32 v13, v90 offset:8320                          // 00000000432C: D81A2080 00005A0D
	ds_write_b32 v13, v91 offset:9344                          // 000000004334: D81A2480 00005B0D
	v_mul_f32_e32 v104, v49, v104                              // 00000000433C: 0AD0D131
	v_mul_f32_e32 v105, v49, v105                              // 000000004340: 0AD2D331
	v_mul_f32_e32 v106, v49, v106                              // 000000004344: 0AD4D531
	v_mul_f32_e32 v107, v49, v107                              // 000000004348: 0AD6D731
	v_mul_f32_e32 v108, v49, v108                              // 00000000434C: 0AD8D931
	v_mul_f32_e32 v109, v49, v109                              // 000000004350: 0ADADB31
	v_mul_f32_e32 v110, v49, v110                              // 000000004354: 0ADCDD31
	v_mul_f32_e32 v111, v49, v111                              // 000000004358: 0ADEDF31
	v_rcp_f32_e32 v49, v50                                     // 00000000435C: 7E624532
	s_waitcnt lgkmcnt(0)                                       // 000000004360: BF8CC07F
	s_barrier                                                  // 000000004364: BF8A0000
	ds_read_b64 v[88:89], v12 offset:6272                      // 000000004368: D8EC1880 5800000C
	ds_read_b64 v[90:91], v12 offset:6400                      // 000000004370: D8EC1900 5A00000C
	ds_read_b64 v[92:93], v12 offset:7296                      // 000000004378: D8EC1C80 5C00000C
	ds_read_b64 v[94:95], v12 offset:7424                      // 000000004380: D8EC1D00 5E00000C
	ds_read_b64 v[96:97], v12 offset:8320                      // 000000004388: D8EC2080 6000000C
	ds_read_b64 v[98:99], v12 offset:8448                      // 000000004390: D8EC2100 6200000C
	ds_read_b64 v[100:101], v12 offset:9344                    // 000000004398: D8EC2480 6400000C
	ds_read_b64 v[102:103], v12 offset:9472                    // 0000000043A0: D8EC2500 6600000C
	v_add_f32_e32 v112, v112, v104                             // 0000000043A8: 02E0D170
	v_add_f32_e32 v113, v113, v105                             // 0000000043AC: 02E2D371
	v_add_f32_e32 v114, v114, v106                             // 0000000043B0: 02E4D572
	v_add_f32_e32 v115, v115, v107                             // 0000000043B4: 02E6D773
	v_add_f32_e32 v116, v116, v108                             // 0000000043B8: 02E8D974
	v_add_f32_e32 v117, v117, v109                             // 0000000043BC: 02EADB75
	v_add_f32_e32 v118, v118, v110                             // 0000000043C0: 02ECDD76
	v_add_f32_e32 v119, v119, v111                             // 0000000043C4: 02EEDF77
	s_waitcnt vmcnt(15)                                        // 0000000043C8: BF8C0F7F
	s_waitcnt lgkmcnt(7)                                       // 0000000043CC: BF8CC77F
	v_mfma_f32_16x16x32_fp8_fp8 v[104:107], v[192:193], v[88:89], 0// 0000000043D0: D3F30068 0202B1C0
	buffer_load_dwordx4 v[240:243], v34, s[20:23], 0 offen offset:1024// 0000000043D8: E05C1400 8005F022
	s_waitcnt lgkmcnt(6)                                       // 0000000043E0: BF8CC67F
	v_mfma_f32_16x16x32_fp8_fp8 v[104:107], v[194:195], v[90:91], v[104:107]// 0000000043E4: D3F30068 05A2B5C2
	s_waitcnt lgkmcnt(5)                                       // 0000000043EC: BF8CC57F
	v_mfma_f32_16x16x32_fp8_fp8 v[104:107], v[196:197], v[92:93], v[104:107]// 0000000043F0: D3F30068 05A2B9C4
	s_waitcnt lgkmcnt(4)                                       // 0000000043F8: BF8CC47F
	v_mfma_f32_16x16x32_fp8_fp8 v[104:107], v[198:199], v[94:95], v[104:107]// 0000000043FC: D3F30068 05A2BDC6
	s_waitcnt lgkmcnt(3)                                       // 000000004404: BF8CC37F
	v_mfma_f32_16x16x32_fp8_fp8 v[104:107], v[200:201], v[96:97], v[104:107]// 000000004408: D3F30068 05A2C1C8
	buffer_load_dwordx4 v[244:247], v35, s[20:23], 0 offen offset:1024// 000000004410: E05C1400 8005F423
	s_waitcnt lgkmcnt(2)                                       // 000000004418: BF8CC27F
	v_mfma_f32_16x16x32_fp8_fp8 v[104:107], v[202:203], v[98:99], v[104:107]// 00000000441C: D3F30068 05A2C5CA
	s_waitcnt lgkmcnt(1)                                       // 000000004424: BF8CC17F
	v_mfma_f32_16x16x32_fp8_fp8 v[104:107], v[204:205], v[100:101], v[104:107]// 000000004428: D3F30068 05A2C9CC
	s_waitcnt lgkmcnt(0)                                       // 000000004430: BF8CC07F
	v_mfma_f32_16x16x32_fp8_fp8 v[104:107], v[206:207], v[102:103], v[104:107]// 000000004434: D3F30068 05A2CDCE
	v_mfma_f32_16x16x32_fp8_fp8 v[108:111], v[208:209], v[88:89], 0// 00000000443C: D3F3006C 0202B1D0
	buffer_load_dwordx4 v[248:251], v36, s[20:23], 0 offen offset:1024// 000000004444: E05C1400 8005F824
	v_mfma_f32_16x16x32_fp8_fp8 v[108:111], v[210:211], v[90:91], v[108:111]// 00000000444C: D3F3006C 05B2B5D2
	v_mfma_f32_16x16x32_fp8_fp8 v[108:111], v[212:213], v[92:93], v[108:111]// 000000004454: D3F3006C 05B2B9D4
	v_mfma_f32_16x16x32_fp8_fp8 v[108:111], v[214:215], v[94:95], v[108:111]// 00000000445C: D3F3006C 05B2BDD6
	v_mfma_f32_16x16x32_fp8_fp8 v[108:111], v[216:217], v[96:97], v[108:111]// 000000004464: D3F3006C 05B2C1D8
	buffer_load_dwordx4 v[252:255], v37, s[20:23], 0 offen offset:1024// 00000000446C: E05C1400 8005FC25
	v_mfma_f32_16x16x32_fp8_fp8 v[108:111], v[218:219], v[98:99], v[108:111]// 000000004474: D3F3006C 05B2C5DA
	v_mfma_f32_16x16x32_fp8_fp8 v[108:111], v[220:221], v[100:101], v[108:111]// 00000000447C: D3F3006C 05B2C9DC
	s_lshr_b32 s57, s70, 4                                     // 000000004484: 8F398446
	s_add_u32 s57, 48, s57                                     // 000000004488: 803939B0
	v_mfma_f32_16x16x32_fp8_fp8 v[108:111], v[222:223], v[102:103], v[108:111]// 00000000448C: D3F3006C 05B2CDDE
	s_cmp_ge_u32 s57, s73                                      // 000000004494: BF094939
	s_cselect_b32 s56, 0, s56                                  // 000000004498: 85383880
	v_add_u32_e32 v1, s56, v1                                  // 00000000449C: 68020238
	s_addk_i32 s70, 0x100                                      // 0000000044A0: B7460100
	s_cmp_lt_i32 s70, s71                                      // 0000000044A4: BF044746
	s_cbranch_scc0 label_069C                                  // 0000000044A8: BF84FDB1
	s_waitcnt vmcnt(8) lgkmcnt(0)                              // 0000000044AC: BF8C0078
	v_mul_u32_u24_dpp v38, v16, v53 row_newbcast:0 row_mask:0xf bank_mask:0xf// 0000000044B0: 104C6AFA FF015010
	v_mul_u32_u24_dpp v39, v16, v53 row_newbcast:4 row_mask:0xf bank_mask:0xf// 0000000044B8: 104E6AFA FF015410
	v_mul_u32_u24_dpp v40, v16, v53 row_newbcast:8 row_mask:0xf bank_mask:0xf// 0000000044C0: 10506AFA FF015810
	v_mul_u32_u24_dpp v41, v16, v53 row_newbcast:12 row_mask:0xf bank_mask:0xf// 0000000044C8: 10526AFA FF015C10
	v_add_u32_e32 v22, v38, v6                                 // 0000000044D0: 682C0D26
	v_add_u32_e32 v23, v39, v6                                 // 0000000044D4: 682E0D27
	v_add_u32_e32 v24, v40, v6                                 // 0000000044D8: 68300D28
	v_add_u32_e32 v25, v41, v6                                 // 0000000044DC: 68320D29
	v_mul_u32_u24_dpp v38, v16, v63 quad_perm:[0,0,0,0] row_mask:0xf bank_mask:0xf// 0000000044E0: 104C7EFA FF000010
	v_add_u32_e32 v2, v38, v59                                 // 0000000044E8: 68047726
	v_mul_u32_u24_dpp v38, v16, v63 quad_perm:[0,0,0,0] row_mask:0xf bank_mask:0xf// 0000000044EC: 104C7EFA FF000010
	v_add_u32_e32 v55, v38, v60                                // 0000000044F4: 686E7926
	v_mfma_f32_16x16x32_fp8_fp8 v[88:91], v[160:161], v[80:81], 0// 0000000044F8: D3F30058 0202A1A0
	buffer_load_dwordx4 v[128:131], v22, s[16:19], 0 offen     // 000000004500: E05C1000 80048016
	v_mfma_f32_16x16x32_fp8_fp8 v[88:91], v[162:163], v[82:83], v[88:91]// 000000004508: D3F30058 0562A5A2
	v_mfma_f32_16x16x32_fp8_fp8 v[88:91], v[164:165], v[84:85], v[88:91]// 000000004510: D3F30058 0562A9A4
	buffer_load_dword v17, v1, s[24:27], 0 offen               // 000000004518: E0501000 80061101
	v_mfma_f32_16x16x32_fp8_fp8 v[88:91], v[166:167], v[86:87], v[88:91]// 000000004520: D3F30058 0562ADA6
	v_mfma_f32_16x16x32_fp8_fp8 v[92:95], v[168:169], v[80:81], 0// 000000004528: D3F3005C 0202A1A8
	buffer_load_dwordx4 v[132:135], v22, s[16:19], 0 offen offset:1024// 000000004530: E05C1400 80048416
	v_mfma_f32_16x16x32_fp8_fp8 v[92:95], v[170:171], v[82:83], v[92:95]// 000000004538: D3F3005C 0572A5AA
	v_mfma_f32_16x16x32_fp8_fp8 v[92:95], v[172:173], v[84:85], v[92:95]// 000000004540: D3F3005C 0572A9AC
	v_mfma_f32_16x16x32_fp8_fp8 v[92:95], v[174:175], v[86:87], v[92:95]// 000000004548: D3F3005C 0572ADAE
	v_mfma_f32_16x16x32_fp8_fp8 v[96:99], v[176:177], v[80:81], 0// 000000004550: D3F30060 0202A1B0
	buffer_load_dwordx4 v[136:139], v23, s[16:19], 0 offen     // 000000004558: E05C1000 80048817
	v_mfma_f32_16x16x32_fp8_fp8 v[96:99], v[178:179], v[82:83], v[96:99]// 000000004560: D3F30060 0582A5B2
	v_mfma_f32_16x16x32_fp8_fp8 v[96:99], v[180:181], v[84:85], v[96:99]// 000000004568: D3F30060 0582A9B4
	v_mfma_f32_16x16x32_fp8_fp8 v[96:99], v[182:183], v[86:87], v[96:99]// 000000004570: D3F30060 0582ADB6
	v_mfma_f32_16x16x32_fp8_fp8 v[100:103], v[184:185], v[80:81], 0// 000000004578: D3F30064 0202A1B8
	buffer_load_dwordx4 v[140:143], v23, s[16:19], 0 offen offset:1024// 000000004580: E05C1400 80048C17
	v_mfma_f32_16x16x32_fp8_fp8 v[100:103], v[186:187], v[82:83], v[100:103]// 000000004588: D3F30064 0592A5BA
	v_mfma_f32_16x16x32_fp8_fp8 v[100:103], v[188:189], v[84:85], v[100:103]// 000000004590: D3F30064 0592A9BC
	v_mfma_f32_16x16x32_fp8_fp8 v[100:103], v[190:191], v[86:87], v[100:103]// 000000004598: D3F30064 0592ADBE
	buffer_load_dword v46, v2, s[32:35], 0 offen               // 0000000045A0: E0501000 80082E02
	v_mov_b32_dpp v38, v47 row_shr:4 row_mask:0xf bank_mask:0xf// 0000000045A8: 7E4C02FA FF01142F
	v_mov_b32_dpp v39, v47 row_shl:4 row_mask:0xf bank_mask:0xf// 0000000045B0: 7E4E02FA FF01042F
	v_cndmask_b32_e64 v120, v47, v38, s[44:45]                 // 0000000045B8: D1000078 00B24D2F
	v_cndmask_b32_e64 v121, v39, v47, s[44:45]                 // 0000000045C0: D1000079 00B25F27
	v_mov_b32_dpp v38, v120 row_shr:8 row_mask:0xf bank_mask:0xf// 0000000045C8: 7E4C02FA FF011878
	v_mov_b32_dpp v39, v120 row_shl:8 row_mask:0xf bank_mask:0xf// 0000000045D0: 7E4E02FA FF010878
	v_mov_b32_dpp v40, v121 row_shr:8 row_mask:0xf bank_mask:0xf// 0000000045D8: 7E5002FA FF011879
	v_mov_b32_dpp v41, v121 row_shl:8 row_mask:0xf bank_mask:0xf// 0000000045E0: 7E5202FA FF010879
	v_mov_b32_e32 v42, v120                                    // 0000000045E8: 7E540378
	v_mov_b32_e32 v43, v121                                    // 0000000045EC: 7E560379
	v_cndmask_b32_e64 v120, v42, v38, s[42:43]                 // 0000000045F0: D1000078 00AA4D2A
	v_cndmask_b32_e64 v122, v42, v39, s[78:79]                 // 0000000045F8: D100007A 013A4F2A
	v_cndmask_b32_e64 v121, v43, v40, s[42:43]                 // 000000004600: D1000079 00AA512B
	v_cndmask_b32_e64 v123, v43, v41, s[78:79]                 // 000000004608: D100007B 013A532B
	v_mov_b32_dpp v38, v58 row_shr:4 row_mask:0xf bank_mask:0xf// 000000004610: 7E4C02FA FF01143A
	v_mov_b32_dpp v39, v58 row_shl:4 row_mask:0xf bank_mask:0xf// 000000004618: 7E4E02FA FF01043A
	v_cndmask_b32_e64 v124, v58, v38, s[44:45]                 // 000000004620: D100007C 00B24D3A
	v_cndmask_b32_e64 v125, v39, v58, s[44:45]                 // 000000004628: D100007D 00B27527
	v_mov_b32_dpp v38, v124 row_shr:8 row_mask:0xf bank_mask:0xf// 000000004630: 7E4C02FA FF01187C
	v_mov_b32_dpp v39, v124 row_shl:8 row_mask:0xf bank_mask:0xf// 000000004638: 7E4E02FA FF01087C
	v_mov_b32_dpp v40, v125 row_shr:8 row_mask:0xf bank_mask:0xf// 000000004640: 7E5002FA FF01187D
	v_mov_b32_dpp v41, v125 row_shl:8 row_mask:0xf bank_mask:0xf// 000000004648: 7E5202FA FF01087D
	v_mov_b32_e32 v42, v124                                    // 000000004650: 7E54037C
	v_mov_b32_e32 v43, v125                                    // 000000004654: 7E56037D
	v_cndmask_b32_e64 v124, v42, v38, s[42:43]                 // 000000004658: D100007C 00AA4D2A
	v_cndmask_b32_e64 v126, v42, v39, s[78:79]                 // 000000004660: D100007E 013A4F2A
	v_cndmask_b32_e64 v125, v43, v40, s[42:43]                 // 000000004668: D100007D 00AA512B
	v_cndmask_b32_e64 v127, v43, v41, s[78:79]                 // 000000004670: D100007F 013A532B
	buffer_load_dword v57, v55, s[36:39], 0 offen              // 000000004678: E0501000 80093937
	v_mul_f32_e32 v88, v48, v88                                // 000000004680: 0AB0B130
	v_mul_f32_e32 v89, v48, v89                                // 000000004684: 0AB2B330
	v_mul_f32_e32 v90, v48, v90                                // 000000004688: 0AB4B530
	v_mul_f32_e32 v91, v48, v91                                // 00000000468C: 0AB6B730
	v_mul_f32_e32 v92, v48, v92                                // 000000004690: 0AB8B930
	v_mul_f32_e32 v93, v48, v93                                // 000000004694: 0ABABB30
	v_mul_f32_e32 v94, v48, v94                                // 000000004698: 0ABCBD30
	v_mul_f32_e32 v95, v48, v95                                // 00000000469C: 0ABEBF30
	v_mul_f32_e32 v96, v48, v96                                // 0000000046A0: 0AC0C130
	v_mul_f32_e32 v97, v48, v97                                // 0000000046A4: 0AC2C330
	v_mul_f32_e32 v98, v48, v98                                // 0000000046A8: 0AC4C530
	v_mul_f32_e32 v99, v48, v99                                // 0000000046AC: 0AC6C730
	v_mul_f32_e32 v100, v48, v100                              // 0000000046B0: 0AC8C930
	v_mul_f32_e32 v101, v48, v101                              // 0000000046B4: 0ACACB30
	v_mul_f32_e32 v102, v48, v102                              // 0000000046B8: 0ACCCD30
	v_mul_f32_e32 v103, v48, v103                              // 0000000046BC: 0ACECF30
	buffer_load_dwordx4 v[144:147], v24, s[16:19], 0 offen     // 0000000046C0: E05C1000 80049018
	v_mul_f32_dpp v88, v120, v88 quad_perm:[0,0,0,0] row_mask:0xf bank_mask:0xf// 0000000046C8: 0AB0B0FA FF000078
	v_mul_f32_dpp v89, v120, v89 quad_perm:[1,1,1,1] row_mask:0xf bank_mask:0xf// 0000000046D0: 0AB2B2FA FF005578
	v_mul_f32_dpp v90, v120, v90 quad_perm:[2,2,2,2] row_mask:0xf bank_mask:0xf// 0000000046D8: 0AB4B4FA FF00AA78
	v_mul_f32_dpp v91, v120, v91 quad_perm:[3,3,3,3] row_mask:0xf bank_mask:0xf// 0000000046E0: 0AB6B6FA FF00FF78
	v_mul_f32_dpp v92, v121, v92 quad_perm:[0,0,0,0] row_mask:0xf bank_mask:0xf// 0000000046E8: 0AB8B8FA FF000079
	v_mul_f32_dpp v93, v121, v93 quad_perm:[1,1,1,1] row_mask:0xf bank_mask:0xf// 0000000046F0: 0ABABAFA FF005579
	v_mul_f32_dpp v94, v121, v94 quad_perm:[2,2,2,2] row_mask:0xf bank_mask:0xf// 0000000046F8: 0ABCBCFA FF00AA79
	v_mul_f32_dpp v95, v121, v95 quad_perm:[3,3,3,3] row_mask:0xf bank_mask:0xf// 000000004700: 0ABEBEFA FF00FF79
	v_mul_f32_dpp v96, v122, v96 quad_perm:[0,0,0,0] row_mask:0xf bank_mask:0xf// 000000004708: 0AC0C0FA FF00007A
	v_mul_f32_dpp v97, v122, v97 quad_perm:[1,1,1,1] row_mask:0xf bank_mask:0xf// 000000004710: 0AC2C2FA FF00557A
	v_mul_f32_dpp v98, v122, v98 quad_perm:[2,2,2,2] row_mask:0xf bank_mask:0xf// 000000004718: 0AC4C4FA FF00AA7A
	v_mul_f32_dpp v99, v122, v99 quad_perm:[3,3,3,3] row_mask:0xf bank_mask:0xf// 000000004720: 0AC6C6FA FF00FF7A
	v_mul_f32_dpp v100, v123, v100 quad_perm:[0,0,0,0] row_mask:0xf bank_mask:0xf// 000000004728: 0AC8C8FA FF00007B
	v_mul_f32_dpp v101, v123, v101 quad_perm:[1,1,1,1] row_mask:0xf bank_mask:0xf// 000000004730: 0ACACAFA FF00557B
	v_mul_f32_dpp v102, v123, v102 quad_perm:[2,2,2,2] row_mask:0xf bank_mask:0xf// 000000004738: 0ACCCCFA FF00AA7B
	v_mul_f32_dpp v103, v123, v103 quad_perm:[3,3,3,3] row_mask:0xf bank_mask:0xf// 000000004740: 0ACECEFA FF00FF7B
	buffer_load_dwordx4 v[148:151], v24, s[16:19], 0 offen offset:1024// 000000004748: E05C1400 80049418
	v_mov_b32_e32 v50, v88                                     // 000000004750: 7E640358
	v_max3_f32 v50, v88, v89, v50                              // 000000004754: D1D30032 04CAB358
	v_max3_f32 v50, v90, v91, v50                              // 00000000475C: D1D30032 04CAB75A
	v_max3_f32 v50, v92, v93, v50                              // 000000004764: D1D30032 04CABB5C
	v_max3_f32 v50, v94, v95, v50                              // 00000000476C: D1D30032 04CABF5E
	v_max3_f32 v50, v96, v97, v50                              // 000000004774: D1D30032 04CAC360
	v_max3_f32 v50, v98, v99, v50                              // 00000000477C: D1D30032 04CAC762
	v_max3_f32 v50, v100, v101, v50                            // 000000004784: D1D30032 04CACB64
	v_max3_f32 v50, v102, v103, v50                            // 00000000478C: D1D30032 04CACF66
	ds_write_b32 v11, v50 offset:4224                          // 000000004794: D81A1080 0000320B
	buffer_load_dwordx4 v[152:155], v25, s[16:19], 0 offen     // 00000000479C: E05C1000 80049819
	v_mul_u32_u24_dpp v38, v16, v53 row_newbcast:1 row_mask:0xf bank_mask:0xf// 0000000047A4: 104C6AFA FF015110
	v_mul_u32_u24_dpp v39, v16, v53 row_newbcast:5 row_mask:0xf bank_mask:0xf// 0000000047AC: 104E6AFA FF015510
	v_mul_u32_u24_dpp v40, v16, v53 row_newbcast:9 row_mask:0xf bank_mask:0xf// 0000000047B4: 10506AFA FF015910
	v_mul_u32_u24_dpp v41, v16, v53 row_newbcast:13 row_mask:0xf bank_mask:0xf// 0000000047BC: 10526AFA FF015D10
	v_add_u32_e32 v30, v38, v7                                 // 0000000047C4: 683C0F26
	v_add_u32_e32 v31, v39, v7                                 // 0000000047C8: 683E0F27
	v_add_u32_e32 v32, v40, v7                                 // 0000000047CC: 68400F28
	v_add_u32_e32 v33, v41, v7                                 // 0000000047D0: 68420F29
	s_waitcnt lgkmcnt(0)                                       // 0000000047D4: BF8CC07F
	s_barrier                                                  // 0000000047D8: BF8A0000
	ds_read_b32 v64, v10 offset:4224                           // 0000000047DC: D86C1080 4000000A
	ds_read_b32 v65, v10 offset:4288                           // 0000000047E4: D86C10C0 4100000A
	ds_read_b32 v66, v10 offset:4352                           // 0000000047EC: D86C1100 4200000A
	ds_read_b32 v67, v10 offset:4416                           // 0000000047F4: D86C1140 4300000A
	ds_read_b32 v68, v10 offset:4480                           // 0000000047FC: D86C1180 4400000A
	ds_read_b32 v69, v10 offset:4544                           // 000000004804: D86C11C0 4500000A
	ds_read_b32 v70, v10 offset:4608                           // 00000000480C: D86C1200 4600000A
	ds_read_b32 v71, v10 offset:4672                           // 000000004814: D86C1240 4700000A
	ds_read_b32 v72, v10 offset:4736                           // 00000000481C: D86C1280 4800000A
	ds_read_b32 v73, v10 offset:4800                           // 000000004824: D86C12C0 4900000A
	ds_read_b32 v74, v10 offset:4864                           // 00000000482C: D86C1300 4A00000A
	ds_read_b32 v75, v10 offset:4928                           // 000000004834: D86C1340 4B00000A
	ds_read_b32 v76, v10 offset:4992                           // 00000000483C: D86C1380 4C00000A
	ds_read_b32 v77, v10 offset:5056                           // 000000004844: D86C13C0 4D00000A
	ds_read_b32 v78, v10 offset:5120                           // 00000000484C: D86C1400 4E00000A
	ds_read_b32 v79, v10 offset:5184                           // 000000004854: D86C1440 4F00000A
	buffer_load_dwordx4 v[156:159], v25, s[16:19], 0 offen offset:1024// 00000000485C: E05C1400 80049C19
	v_mul_f32_e32 v112, v51, v112                              // 000000004864: 0AE0E133
	v_mul_f32_e32 v113, v51, v113                              // 000000004868: 0AE2E333
	v_mul_f32_e32 v114, v51, v114                              // 00000000486C: 0AE4E533
	v_mul_f32_e32 v115, v51, v115                              // 000000004870: 0AE6E733
	v_mul_f32_e32 v116, v51, v116                              // 000000004874: 0AE8E933
	v_mul_f32_e32 v117, v51, v117                              // 000000004878: 0AEAEB33
	v_mul_f32_e32 v118, v51, v118                              // 00000000487C: 0AECED33
	v_mul_f32_e32 v119, v51, v119                              // 000000004880: 0AEEEF33
	s_waitcnt lgkmcnt(0)                                       // 000000004884: BF8CC07F
	v_max3_f32 v50, v64, v65, v50                              // 000000004888: D1D30032 04CA8340
	v_max3_f32 v50, v66, v67, v50                              // 000000004890: D1D30032 04CA8742
	v_max3_f32 v50, v68, v69, v50                              // 000000004898: D1D30032 04CA8B44
	v_max3_f32 v50, v70, v71, v50                              // 0000000048A0: D1D30032 04CA8F46
	v_max3_f32 v50, v72, v73, v50                              // 0000000048A8: D1D30032 04CA9348
	v_max3_f32 v50, v74, v75, v50                              // 0000000048B0: D1D30032 04CA974A
	v_max3_f32 v50, v76, v77, v50                              // 0000000048B8: D1D30032 04CA9B4C
	v_max3_f32 v50, v78, v79, v50                              // 0000000048C0: D1D30032 04CA9F4E
	buffer_load_dwordx4 v[192:195], v30, s[20:23], 0 offen     // 0000000048C8: E05C1000 8005C01E
	v_cmp_eq_u32_e64 s[40:41], v54, v14                        // 0000000048D0: D0CA0028 00021D36
	s_nop 1                                                    // 0000000048D8: BF800001
	v_max_f32_e32 v15, v50, v14                                // 0000000048DC: 161E1D32
	v_mul_f32_e32 v52, s64, v15                                // 0000000048E0: 0A681E40
	v_fma_f32 v88, v88, s64, -v52                              // 0000000048E4: D1CB0058 84D08158
	v_fma_f32 v89, v89, s64, -v52                              // 0000000048EC: D1CB0059 84D08159
	v_fma_f32 v90, v90, s64, -v52                              // 0000000048F4: D1CB005A 84D0815A
	v_fma_f32 v91, v91, s64, -v52                              // 0000000048FC: D1CB005B 84D0815B
	v_fma_f32 v92, v92, s64, -v52                              // 000000004904: D1CB005C 84D0815C
	v_fma_f32 v93, v93, s64, -v52                              // 00000000490C: D1CB005D 84D0815D
	v_fma_f32 v94, v94, s64, -v52                              // 000000004914: D1CB005E 84D0815E
	v_fma_f32 v95, v95, s64, -v52                              // 00000000491C: D1CB005F 84D0815F
	v_fma_f32 v96, v96, s64, -v52                              // 000000004924: D1CB0060 84D08160
	v_fma_f32 v97, v97, s64, -v52                              // 00000000492C: D1CB0061 84D08161
	v_fma_f32 v98, v98, s64, -v52                              // 000000004934: D1CB0062 84D08162
	v_fma_f32 v99, v99, s64, -v52                              // 00000000493C: D1CB0063 84D08163
	v_fma_f32 v100, v100, s64, -v52                            // 000000004944: D1CB0064 84D08164
	v_fma_f32 v101, v101, s64, -v52                            // 00000000494C: D1CB0065 84D08165
	v_fma_f32 v102, v102, s64, -v52                            // 000000004954: D1CB0066 84D08166
	v_fma_f32 v103, v103, s64, -v52                            // 00000000495C: D1CB0067 84D08167
	buffer_load_dwordx4 v[196:199], v31, s[20:23], 0 offen     // 000000004964: E05C1000 8005C41F
	v_exp_f32_e32 v88, v88                                     // 00000000496C: 7EB04158
	v_exp_f32_e32 v89, v89                                     // 000000004970: 7EB24159
	v_exp_f32_e32 v90, v90                                     // 000000004974: 7EB4415A
	v_exp_f32_e32 v91, v91                                     // 000000004978: 7EB6415B
	v_exp_f32_e32 v92, v92                                     // 00000000497C: 7EB8415C
	v_exp_f32_e32 v93, v93                                     // 000000004980: 7EBA415D
	v_exp_f32_e32 v94, v94                                     // 000000004984: 7EBC415E
	v_exp_f32_e32 v95, v95                                     // 000000004988: 7EBE415F
	v_exp_f32_e32 v96, v96                                     // 00000000498C: 7EC04160
	v_exp_f32_e32 v97, v97                                     // 000000004990: 7EC24161
	v_exp_f32_e32 v98, v98                                     // 000000004994: 7EC44162
	v_exp_f32_e32 v99, v99                                     // 000000004998: 7EC64163
	v_exp_f32_e32 v100, v100                                   // 00000000499C: 7EC84164
	v_exp_f32_e32 v101, v101                                   // 0000000049A0: 7ECA4165
	v_exp_f32_e32 v102, v102                                   // 0000000049A4: 7ECC4166
	v_exp_f32_e32 v103, v103                                   // 0000000049A8: 7ECE4167
	buffer_load_dwordx4 v[200:203], v32, s[20:23], 0 offen     // 0000000049AC: E05C1000 8005C820
	v_mul_f32_dpp v160, v124, v88 quad_perm:[0,0,0,0] row_mask:0xf bank_mask:0xf// 0000000049B4: 0B40B0FA FF00007C
	v_mul_f32_dpp v161, v124, v89 quad_perm:[1,1,1,1] row_mask:0xf bank_mask:0xf// 0000000049BC: 0B42B2FA FF00557C
	v_mul_f32_dpp v162, v124, v90 quad_perm:[2,2,2,2] row_mask:0xf bank_mask:0xf// 0000000049C4: 0B44B4FA FF00AA7C
	v_mul_f32_dpp v163, v124, v91 quad_perm:[3,3,3,3] row_mask:0xf bank_mask:0xf// 0000000049CC: 0B46B6FA FF00FF7C
	v_mul_f32_dpp v164, v125, v92 quad_perm:[0,0,0,0] row_mask:0xf bank_mask:0xf// 0000000049D4: 0B48B8FA FF00007D
	v_mul_f32_dpp v165, v125, v93 quad_perm:[1,1,1,1] row_mask:0xf bank_mask:0xf// 0000000049DC: 0B4ABAFA FF00557D
	v_mul_f32_dpp v166, v125, v94 quad_perm:[2,2,2,2] row_mask:0xf bank_mask:0xf// 0000000049E4: 0B4CBCFA FF00AA7D
	v_mul_f32_dpp v167, v125, v95 quad_perm:[3,3,3,3] row_mask:0xf bank_mask:0xf// 0000000049EC: 0B4EBEFA FF00FF7D
	v_mul_f32_dpp v168, v126, v96 quad_perm:[0,0,0,0] row_mask:0xf bank_mask:0xf// 0000000049F4: 0B50C0FA FF00007E
	v_mul_f32_dpp v169, v126, v97 quad_perm:[1,1,1,1] row_mask:0xf bank_mask:0xf// 0000000049FC: 0B52C2FA FF00557E
	v_mul_f32_dpp v170, v126, v98 quad_perm:[2,2,2,2] row_mask:0xf bank_mask:0xf// 000000004A04: 0B54C4FA FF00AA7E
	v_mul_f32_dpp v171, v126, v99 quad_perm:[3,3,3,3] row_mask:0xf bank_mask:0xf// 000000004A0C: 0B56C6FA FF00FF7E
	v_mul_f32_dpp v172, v127, v100 quad_perm:[0,0,0,0] row_mask:0xf bank_mask:0xf// 000000004A14: 0B58C8FA FF00007F
	v_mul_f32_dpp v173, v127, v101 quad_perm:[1,1,1,1] row_mask:0xf bank_mask:0xf// 000000004A1C: 0B5ACAFA FF00557F
	v_mul_f32_dpp v174, v127, v102 quad_perm:[2,2,2,2] row_mask:0xf bank_mask:0xf// 000000004A24: 0B5CCCFA FF00AA7F
	v_mul_f32_dpp v175, v127, v103 quad_perm:[3,3,3,3] row_mask:0xf bank_mask:0xf// 000000004A2C: 0B5ECEFA FF00FF7F
	v_mov_b32_e32 v50, 0x358637bd                              // 000000004A34: 7E6402FF 358637BD
	v_max3_f32 v50, |v160|, |v161|, v50                        // 000000004A3C: D1D30332 04CB43A0
	v_max3_f32 v50, |v162|, |v163|, v50                        // 000000004A44: D1D30332 04CB47A2
	v_max3_f32 v50, |v164|, |v165|, v50                        // 000000004A4C: D1D30332 04CB4BA4
	v_max3_f32 v50, |v166|, |v167|, v50                        // 000000004A54: D1D30332 04CB4FA6
	v_max3_f32 v50, |v168|, |v169|, v50                        // 000000004A5C: D1D30332 04CB53A8
	v_max3_f32 v50, |v170|, |v171|, v50                        // 000000004A64: D1D30332 04CB57AA
	v_max3_f32 v50, |v172|, |v173|, v50                        // 000000004A6C: D1D30332 04CB5BAC
	v_max3_f32 v50, |v174|, |v175|, v50                        // 000000004A74: D1D30332 04CB5FAE
	buffer_load_dwordx4 v[204:207], v33, s[20:23], 0 offen     // 000000004A7C: E05C1000 8005CC21
	ds_write_b32 v11, v50 offset:5248                          // 000000004A84: D81A1480 0000320B
	v_sub_f32_e32 v51, v14, v15                                // 000000004A8C: 04661F0E
	v_cndmask_b32_e64 v51, v51, 0, s[40:41]                    // 000000004A90: D1000033 00A10133
	v_mov_b32_e32 v14, v15                                     // 000000004A98: 7E1C030F
	v_mul_f32_e32 v51, s64, v51                                // 000000004A9C: 0A666640
	v_exp_f32_e32 v51, v51                                     // 000000004AA0: 7E664133
	s_waitcnt lgkmcnt(0)                                       // 000000004AA4: BF8CC07F
	s_barrier                                                  // 000000004AA8: BF8A0000
	ds_read_b32 v64, v10 offset:5248                           // 000000004AAC: D86C1480 4000000A
	ds_read_b32 v65, v10 offset:5312                           // 000000004AB4: D86C14C0 4100000A
	ds_read_b32 v66, v10 offset:5376                           // 000000004ABC: D86C1500 4200000A
	ds_read_b32 v67, v10 offset:5440                           // 000000004AC4: D86C1540 4300000A
	ds_read_b32 v68, v10 offset:5504                           // 000000004ACC: D86C1580 4400000A
	ds_read_b32 v69, v10 offset:5568                           // 000000004AD4: D86C15C0 4500000A
	ds_read_b32 v70, v10 offset:5632                           // 000000004ADC: D86C1600 4600000A
	ds_read_b32 v71, v10 offset:5696                           // 000000004AE4: D86C1640 4700000A
	ds_read_b32 v72, v10 offset:5760                           // 000000004AEC: D86C1680 4800000A
	ds_read_b32 v73, v10 offset:5824                           // 000000004AF4: D86C16C0 4900000A
	ds_read_b32 v74, v10 offset:5888                           // 000000004AFC: D86C1700 4A00000A
	ds_read_b32 v75, v10 offset:5952                           // 000000004B04: D86C1740 4B00000A
	ds_read_b32 v76, v10 offset:6016                           // 000000004B0C: D86C1780 4C00000A
	ds_read_b32 v77, v10 offset:6080                           // 000000004B14: D86C17C0 4D00000A
	ds_read_b32 v78, v10 offset:6144                           // 000000004B1C: D86C1800 4E00000A
	ds_read_b32 v79, v10 offset:6208                           // 000000004B24: D86C1840 4F00000A
	v_mul_f32_e32 v44, v51, v44                                // 000000004B2C: 0A585933
	v_mov_b32_e32 v45, v88                                     // 000000004B30: 7E5A0358
	v_add_f32_e32 v45, v89, v45                                // 000000004B34: 025A5B59
	v_add_f32_e32 v45, v90, v45                                // 000000004B38: 025A5B5A
	v_add_f32_e32 v45, v91, v45                                // 000000004B3C: 025A5B5B
	v_add_f32_e32 v45, v92, v45                                // 000000004B40: 025A5B5C
	v_add_f32_e32 v45, v93, v45                                // 000000004B44: 025A5B5D
	v_add_f32_e32 v45, v94, v45                                // 000000004B48: 025A5B5E
	v_add_f32_e32 v45, v95, v45                                // 000000004B4C: 025A5B5F
	v_add_f32_e32 v45, v96, v45                                // 000000004B50: 025A5B60
	v_add_f32_e32 v45, v97, v45                                // 000000004B54: 025A5B61
	v_add_f32_e32 v45, v98, v45                                // 000000004B58: 025A5B62
	v_add_f32_e32 v45, v99, v45                                // 000000004B5C: 025A5B63
	v_add_f32_e32 v45, v100, v45                               // 000000004B60: 025A5B64
	v_add_f32_e32 v45, v101, v45                               // 000000004B64: 025A5B65
	v_add_f32_e32 v45, v102, v45                               // 000000004B68: 025A5B66
	v_add_f32_e32 v45, v103, v45                               // 000000004B6C: 025A5B67
	v_add_f32_e32 v44, v45, v44                                // 000000004B70: 0258592D
	s_waitcnt lgkmcnt(0)                                       // 000000004B74: BF8CC07F
	v_max3_f32 v50, |v64|, |v65|, v50                          // 000000004B78: D1D30332 04CA8340
	v_max3_f32 v50, |v66|, |v67|, v50                          // 000000004B80: D1D30332 04CA8742
	v_max3_f32 v50, |v68|, |v69|, v50                          // 000000004B88: D1D30332 04CA8B44
	v_max3_f32 v50, |v70|, |v71|, v50                          // 000000004B90: D1D30332 04CA8F46
	v_max3_f32 v50, |v72|, |v73|, v50                          // 000000004B98: D1D30332 04CA9348
	v_max3_f32 v50, |v74|, |v75|, v50                          // 000000004BA0: D1D30332 04CA974A
	v_max3_f32 v50, |v76|, |v77|, v50                          // 000000004BA8: D1D30332 04CA9B4C
	v_max3_f32 v50, |v78|, |v79|, v50                          // 000000004BB0: D1D30332 04CA9F4E
	s_nop 2                                                    // 000000004BB8: BF800002
	v_rcp_f32_e32 v50, v50                                     // 000000004BBC: 7E644532
	s_nop 1                                                    // 000000004BC0: BF800001
	v_mul_f32_e32 v50, 0x43700000, v50                         // 000000004BC4: 0A6464FF 43700000
	v_mul_f32_e32 v88, v50, v160                               // 000000004BCC: 0AB14132
	v_mul_f32_e32 v89, v50, v161                               // 000000004BD0: 0AB34332
	v_mul_f32_e32 v90, v50, v162                               // 000000004BD4: 0AB54532
	v_mul_f32_e32 v91, v50, v163                               // 000000004BD8: 0AB74732
	v_mul_f32_e32 v92, v50, v164                               // 000000004BDC: 0AB94932
	v_mul_f32_e32 v93, v50, v165                               // 000000004BE0: 0ABB4B32
	v_mul_f32_e32 v94, v50, v166                               // 000000004BE4: 0ABD4D32
	v_mul_f32_e32 v95, v50, v167                               // 000000004BE8: 0ABF4F32
	v_mul_f32_e32 v96, v50, v168                               // 000000004BEC: 0AC15132
	v_mul_f32_e32 v97, v50, v169                               // 000000004BF0: 0AC35332
	v_mul_f32_e32 v98, v50, v170                               // 000000004BF4: 0AC55532
	v_mul_f32_e32 v99, v50, v171                               // 000000004BF8: 0AC75732
	v_mul_f32_e32 v100, v50, v172                              // 000000004BFC: 0AC95932
	v_mul_f32_e32 v101, v50, v173                              // 000000004C00: 0ACB5B32
	v_mul_f32_e32 v102, v50, v174                              // 000000004C04: 0ACD5D32
	v_mul_f32_e32 v103, v50, v175                              // 000000004C08: 0ACF5F32
	v_cvt_pk_fp8_f32 v88, v88, v89                             // 000000004C0C: D2A20058 0002B358
	v_cvt_pk_fp8_f32 v88, v90, v91 op_sel:[0,0,1]              // 000000004C14: D2A24058 0002B75A
	v_cvt_pk_fp8_f32 v89, v92, v93                             // 000000004C1C: D2A20059 0002BB5C
	v_cvt_pk_fp8_f32 v89, v94, v95 op_sel:[0,0,1]              // 000000004C24: D2A24059 0002BF5E
	v_cvt_pk_fp8_f32 v90, v96, v97                             // 000000004C2C: D2A2005A 0002C360
	v_cvt_pk_fp8_f32 v90, v98, v99 op_sel:[0,0,1]              // 000000004C34: D2A2405A 0002C762
	v_cvt_pk_fp8_f32 v91, v100, v101                           // 000000004C3C: D2A2005B 0002CB64
	v_cvt_pk_fp8_f32 v91, v102, v103 op_sel:[0,0,1]            // 000000004C44: D2A2405B 0002CF66
	ds_write_b32 v13, v88 offset:6272                          // 000000004C4C: D81A1880 0000580D
	ds_write_b32 v13, v89 offset:7296                          // 000000004C54: D81A1C80 0000590D
	ds_write_b32 v13, v90 offset:8320                          // 000000004C5C: D81A2080 00005A0D
	ds_write_b32 v13, v91 offset:9344                          // 000000004C64: D81A2480 00005B0D
	v_mul_f32_e32 v104, v49, v104                              // 000000004C6C: 0AD0D131
	v_mul_f32_e32 v105, v49, v105                              // 000000004C70: 0AD2D331
	v_mul_f32_e32 v106, v49, v106                              // 000000004C74: 0AD4D531
	v_mul_f32_e32 v107, v49, v107                              // 000000004C78: 0AD6D731
	v_mul_f32_e32 v108, v49, v108                              // 000000004C7C: 0AD8D931
	v_mul_f32_e32 v109, v49, v109                              // 000000004C80: 0ADADB31
	v_mul_f32_e32 v110, v49, v110                              // 000000004C84: 0ADCDD31
	v_mul_f32_e32 v111, v49, v111                              // 000000004C88: 0ADEDF31
	v_rcp_f32_e32 v49, v50                                     // 000000004C8C: 7E624532
	s_waitcnt lgkmcnt(0)                                       // 000000004C90: BF8CC07F
	s_barrier                                                  // 000000004C94: BF8A0000
	ds_read_b64 v[88:89], v12 offset:6272                      // 000000004C98: D8EC1880 5800000C
	ds_read_b64 v[90:91], v12 offset:6400                      // 000000004CA0: D8EC1900 5A00000C
	ds_read_b64 v[92:93], v12 offset:7296                      // 000000004CA8: D8EC1C80 5C00000C
	ds_read_b64 v[94:95], v12 offset:7424                      // 000000004CB0: D8EC1D00 5E00000C
	ds_read_b64 v[96:97], v12 offset:8320                      // 000000004CB8: D8EC2080 6000000C
	ds_read_b64 v[98:99], v12 offset:8448                      // 000000004CC0: D8EC2100 6200000C
	ds_read_b64 v[100:101], v12 offset:9344                    // 000000004CC8: D8EC2480 6400000C
	ds_read_b64 v[102:103], v12 offset:9472                    // 000000004CD0: D8EC2500 6600000C
	v_add_f32_e32 v112, v112, v104                             // 000000004CD8: 02E0D170
	v_add_f32_e32 v113, v113, v105                             // 000000004CDC: 02E2D371
	v_add_f32_e32 v114, v114, v106                             // 000000004CE0: 02E4D572
	v_add_f32_e32 v115, v115, v107                             // 000000004CE4: 02E6D773
	v_add_f32_e32 v116, v116, v108                             // 000000004CE8: 02E8D974
	v_add_f32_e32 v117, v117, v109                             // 000000004CEC: 02EADB75
	v_add_f32_e32 v118, v118, v110                             // 000000004CF0: 02ECDD76
	v_add_f32_e32 v119, v119, v111                             // 000000004CF4: 02EEDF77
	s_waitcnt vmcnt(15)                                        // 000000004CF8: BF8C0F7F
	s_waitcnt lgkmcnt(7)                                       // 000000004CFC: BF8CC77F
	v_mfma_f32_16x16x32_fp8_fp8 v[104:107], v[224:225], v[88:89], 0// 000000004D00: D3F30068 0202B1E0
	buffer_load_dwordx4 v[208:211], v30, s[20:23], 0 offen offset:1024// 000000004D08: E05C1400 8005D01E
	s_waitcnt lgkmcnt(6)                                       // 000000004D10: BF8CC67F
	v_mfma_f32_16x16x32_fp8_fp8 v[104:107], v[226:227], v[90:91], v[104:107]// 000000004D14: D3F30068 05A2B5E2
	s_waitcnt lgkmcnt(5)                                       // 000000004D1C: BF8CC57F
	v_mfma_f32_16x16x32_fp8_fp8 v[104:107], v[228:229], v[92:93], v[104:107]// 000000004D20: D3F30068 05A2B9E4
	s_waitcnt lgkmcnt(4)                                       // 000000004D28: BF8CC47F
	v_mfma_f32_16x16x32_fp8_fp8 v[104:107], v[230:231], v[94:95], v[104:107]// 000000004D2C: D3F30068 05A2BDE6
	s_waitcnt lgkmcnt(3)                                       // 000000004D34: BF8CC37F
	v_mfma_f32_16x16x32_fp8_fp8 v[104:107], v[232:233], v[96:97], v[104:107]// 000000004D38: D3F30068 05A2C1E8
	buffer_load_dwordx4 v[212:215], v31, s[20:23], 0 offen offset:1024// 000000004D40: E05C1400 8005D41F
	s_waitcnt lgkmcnt(2)                                       // 000000004D48: BF8CC27F
	v_mfma_f32_16x16x32_fp8_fp8 v[104:107], v[234:235], v[98:99], v[104:107]// 000000004D4C: D3F30068 05A2C5EA
	s_waitcnt lgkmcnt(1)                                       // 000000004D54: BF8CC17F
	v_mfma_f32_16x16x32_fp8_fp8 v[104:107], v[236:237], v[100:101], v[104:107]// 000000004D58: D3F30068 05A2C9EC
	s_waitcnt lgkmcnt(0)                                       // 000000004D60: BF8CC07F
	v_mfma_f32_16x16x32_fp8_fp8 v[104:107], v[238:239], v[102:103], v[104:107]// 000000004D64: D3F30068 05A2CDEE
	v_mfma_f32_16x16x32_fp8_fp8 v[108:111], v[240:241], v[88:89], 0// 000000004D6C: D3F3006C 0202B1F0
	buffer_load_dwordx4 v[216:219], v32, s[20:23], 0 offen offset:1024// 000000004D74: E05C1400 8005D820
	v_mfma_f32_16x16x32_fp8_fp8 v[108:111], v[242:243], v[90:91], v[108:111]// 000000004D7C: D3F3006C 05B2B5F2
	v_mfma_f32_16x16x32_fp8_fp8 v[108:111], v[244:245], v[92:93], v[108:111]// 000000004D84: D3F3006C 05B2B9F4
	v_mfma_f32_16x16x32_fp8_fp8 v[108:111], v[246:247], v[94:95], v[108:111]// 000000004D8C: D3F3006C 05B2BDF6
	v_mfma_f32_16x16x32_fp8_fp8 v[108:111], v[248:249], v[96:97], v[108:111]// 000000004D94: D3F3006C 05B2C1F8
	buffer_load_dwordx4 v[220:223], v33, s[20:23], 0 offen offset:1024// 000000004D9C: E05C1400 8005DC21
	v_mfma_f32_16x16x32_fp8_fp8 v[108:111], v[250:251], v[98:99], v[108:111]// 000000004DA4: D3F3006C 05B2C5FA
	v_mfma_f32_16x16x32_fp8_fp8 v[108:111], v[252:253], v[100:101], v[108:111]// 000000004DAC: D3F3006C 05B2C9FC
	s_lshr_b32 s57, s70, 4                                     // 000000004DB4: 8F398446
	s_add_u32 s57, 48, s57                                     // 000000004DB8: 803939B0
	v_mfma_f32_16x16x32_fp8_fp8 v[108:111], v[254:255], v[102:103], v[108:111]// 000000004DBC: D3F3006C 05B2CDFE
	s_cmp_ge_u32 s57, s73                                      // 000000004DC4: BF094939
	s_cselect_b32 s56, 0, s56                                  // 000000004DC8: 85383880
	v_add_u32_e32 v1, s56, v1                                  // 000000004DCC: 68020238
	s_addk_i32 s70, 0x100                                      // 000000004DD0: B7460100
	s_cmp_lt_i32 s70, s71                                      // 000000004DD4: BF044746
	s_cbranch_scc0 label_069C                                  // 000000004DD8: BF84FB65
	s_branch label_069F                                        // 000000004DDC: BF82FB67

0000000000004de0 <label_0B38>:
	s_lshr_b32 s60, s71, 4                                     // 000000004DE0: 8F3C8447
	s_cmp_eq_i32 s60, s73                                      // 000000004DE4: BF00493C
	s_cbranch_scc1 label_1023                                  // 000000004DE8: BF8504E8
	s_lshr_b32 s60, s71, 8                                     // 000000004DEC: 8F3C8847
	s_and_b32 s60, s60, 1                                      // 000000004DF0: 863C813C
	s_cmp_eq_i32 s60, 1                                        // 000000004DF4: BF00813C
	s_cbranch_scc1 label_0DB1                                  // 000000004DF8: BF850272
	s_waitcnt vmcnt(8) lgkmcnt(0)                              // 000000004DFC: BF8C0078
	s_barrier                                                  // 000000004E00: BF8A0000
	v_mfma_f32_16x16x32_fp8_fp8 v[88:91], v[128:129], v[80:81], 0// 000000004E04: D3F30058 0202A180
	v_mfma_f32_16x16x32_fp8_fp8 v[88:91], v[130:131], v[82:83], v[88:91]// 000000004E0C: D3F30058 0562A582
	v_mfma_f32_16x16x32_fp8_fp8 v[88:91], v[132:133], v[84:85], v[88:91]// 000000004E14: D3F30058 0562A984
	v_mfma_f32_16x16x32_fp8_fp8 v[88:91], v[134:135], v[86:87], v[88:91]// 000000004E1C: D3F30058 0562AD86
	v_mfma_f32_16x16x32_fp8_fp8 v[92:95], v[136:137], v[80:81], 0// 000000004E24: D3F3005C 0202A188
	v_mfma_f32_16x16x32_fp8_fp8 v[92:95], v[138:139], v[82:83], v[92:95]// 000000004E2C: D3F3005C 0572A58A
	v_mfma_f32_16x16x32_fp8_fp8 v[92:95], v[140:141], v[84:85], v[92:95]// 000000004E34: D3F3005C 0572A98C
	v_mfma_f32_16x16x32_fp8_fp8 v[92:95], v[142:143], v[86:87], v[92:95]// 000000004E3C: D3F3005C 0572AD8E
	v_mfma_f32_16x16x32_fp8_fp8 v[96:99], v[144:145], v[80:81], 0// 000000004E44: D3F30060 0202A190
	v_mfma_f32_16x16x32_fp8_fp8 v[96:99], v[146:147], v[82:83], v[96:99]// 000000004E4C: D3F30060 0582A592
	v_mfma_f32_16x16x32_fp8_fp8 v[96:99], v[148:149], v[84:85], v[96:99]// 000000004E54: D3F30060 0582A994
	v_mfma_f32_16x16x32_fp8_fp8 v[96:99], v[150:151], v[86:87], v[96:99]// 000000004E5C: D3F30060 0582AD96
	v_mfma_f32_16x16x32_fp8_fp8 v[100:103], v[152:153], v[80:81], 0// 000000004E64: D3F30064 0202A198
	v_mfma_f32_16x16x32_fp8_fp8 v[100:103], v[154:155], v[82:83], v[100:103]// 000000004E6C: D3F30064 0592A59A
	v_mfma_f32_16x16x32_fp8_fp8 v[100:103], v[156:157], v[84:85], v[100:103]// 000000004E74: D3F30064 0592A99C
	v_mfma_f32_16x16x32_fp8_fp8 v[100:103], v[158:159], v[86:87], v[100:103]// 000000004E7C: D3F30064 0592AD9E
	v_mov_b32_dpp v38, v46 row_shr:4 row_mask:0xf bank_mask:0xf// 000000004E84: 7E4C02FA FF01142E
	v_mov_b32_dpp v39, v46 row_shl:4 row_mask:0xf bank_mask:0xf// 000000004E8C: 7E4E02FA FF01042E
	v_cndmask_b32_e64 v120, v46, v38, s[44:45]                 // 000000004E94: D1000078 00B24D2E
	v_cndmask_b32_e64 v121, v39, v46, s[44:45]                 // 000000004E9C: D1000079 00B25D27
	v_mov_b32_dpp v38, v120 row_shr:8 row_mask:0xf bank_mask:0xf// 000000004EA4: 7E4C02FA FF011878
	v_mov_b32_dpp v39, v120 row_shl:8 row_mask:0xf bank_mask:0xf// 000000004EAC: 7E4E02FA FF010878
	v_mov_b32_dpp v40, v121 row_shr:8 row_mask:0xf bank_mask:0xf// 000000004EB4: 7E5002FA FF011879
	v_mov_b32_dpp v41, v121 row_shl:8 row_mask:0xf bank_mask:0xf// 000000004EBC: 7E5202FA FF010879
	v_mov_b32_e32 v42, v120                                    // 000000004EC4: 7E540378
	v_mov_b32_e32 v43, v121                                    // 000000004EC8: 7E560379
	v_cndmask_b32_e64 v120, v42, v38, s[42:43]                 // 000000004ECC: D1000078 00AA4D2A
	v_cndmask_b32_e64 v122, v42, v39, s[78:79]                 // 000000004ED4: D100007A 013A4F2A
	v_cndmask_b32_e64 v121, v43, v40, s[42:43]                 // 000000004EDC: D1000079 00AA512B
	v_cndmask_b32_e64 v123, v43, v41, s[78:79]                 // 000000004EE4: D100007B 013A532B
	v_mov_b32_dpp v38, v57 row_shr:4 row_mask:0xf bank_mask:0xf// 000000004EEC: 7E4C02FA FF011439
	v_mov_b32_dpp v39, v57 row_shl:4 row_mask:0xf bank_mask:0xf// 000000004EF4: 7E4E02FA FF010439
	v_cndmask_b32_e64 v124, v57, v38, s[44:45]                 // 000000004EFC: D100007C 00B24D39
	v_cndmask_b32_e64 v125, v39, v57, s[44:45]                 // 000000004F04: D100007D 00B27327
	v_mov_b32_dpp v38, v124 row_shr:8 row_mask:0xf bank_mask:0xf// 000000004F0C: 7E4C02FA FF01187C
	v_mov_b32_dpp v39, v124 row_shl:8 row_mask:0xf bank_mask:0xf// 000000004F14: 7E4E02FA FF01087C
	v_mov_b32_dpp v40, v125 row_shr:8 row_mask:0xf bank_mask:0xf// 000000004F1C: 7E5002FA FF01187D
	v_mov_b32_dpp v41, v125 row_shl:8 row_mask:0xf bank_mask:0xf// 000000004F24: 7E5202FA FF01087D
	v_mov_b32_e32 v42, v124                                    // 000000004F2C: 7E54037C
	v_mov_b32_e32 v43, v125                                    // 000000004F30: 7E56037D
	v_cndmask_b32_e64 v124, v42, v38, s[42:43]                 // 000000004F34: D100007C 00AA4D2A
	v_cndmask_b32_e64 v126, v42, v39, s[78:79]                 // 000000004F3C: D100007E 013A4F2A
	v_cndmask_b32_e64 v125, v43, v40, s[42:43]                 // 000000004F44: D100007D 00AA512B
	v_cndmask_b32_e64 v127, v43, v41, s[78:79]                 // 000000004F4C: D100007F 013A532B
	v_mul_f32_e32 v88, v48, v88                                // 000000004F54: 0AB0B130
	v_mul_f32_e32 v89, v48, v89                                // 000000004F58: 0AB2B330
	v_mul_f32_e32 v90, v48, v90                                // 000000004F5C: 0AB4B530
	v_mul_f32_e32 v91, v48, v91                                // 000000004F60: 0AB6B730
	v_mul_f32_e32 v92, v48, v92                                // 000000004F64: 0AB8B930
	v_mul_f32_e32 v93, v48, v93                                // 000000004F68: 0ABABB30
	v_mul_f32_e32 v94, v48, v94                                // 000000004F6C: 0ABCBD30
	v_mul_f32_e32 v95, v48, v95                                // 000000004F70: 0ABEBF30
	v_mul_f32_e32 v96, v48, v96                                // 000000004F74: 0AC0C130
	v_mul_f32_e32 v97, v48, v97                                // 000000004F78: 0AC2C330
	v_mul_f32_e32 v98, v48, v98                                // 000000004F7C: 0AC4C530
	v_mul_f32_e32 v99, v48, v99                                // 000000004F80: 0AC6C730
	v_mul_f32_e32 v100, v48, v100                              // 000000004F84: 0AC8C930
	v_mul_f32_e32 v101, v48, v101                              // 000000004F88: 0ACACB30
	v_mul_f32_e32 v102, v48, v102                              // 000000004F8C: 0ACCCD30
	v_mul_f32_e32 v103, v48, v103                              // 000000004F90: 0ACECF30
	v_mul_f32_dpp v88, v120, v88 quad_perm:[0,0,0,0] row_mask:0xf bank_mask:0xf// 000000004F94: 0AB0B0FA FF000078
	v_mul_f32_dpp v89, v120, v89 quad_perm:[1,1,1,1] row_mask:0xf bank_mask:0xf// 000000004F9C: 0AB2B2FA FF005578
	v_mul_f32_dpp v90, v120, v90 quad_perm:[2,2,2,2] row_mask:0xf bank_mask:0xf// 000000004FA4: 0AB4B4FA FF00AA78
	v_mul_f32_dpp v91, v120, v91 quad_perm:[3,3,3,3] row_mask:0xf bank_mask:0xf// 000000004FAC: 0AB6B6FA FF00FF78
	v_mul_f32_dpp v92, v121, v92 quad_perm:[0,0,0,0] row_mask:0xf bank_mask:0xf// 000000004FB4: 0AB8B8FA FF000079
	v_mul_f32_dpp v93, v121, v93 quad_perm:[1,1,1,1] row_mask:0xf bank_mask:0xf// 000000004FBC: 0ABABAFA FF005579
	v_mul_f32_dpp v94, v121, v94 quad_perm:[2,2,2,2] row_mask:0xf bank_mask:0xf// 000000004FC4: 0ABCBCFA FF00AA79
	v_mul_f32_dpp v95, v121, v95 quad_perm:[3,3,3,3] row_mask:0xf bank_mask:0xf// 000000004FCC: 0ABEBEFA FF00FF79
	v_mul_f32_dpp v96, v122, v96 quad_perm:[0,0,0,0] row_mask:0xf bank_mask:0xf// 000000004FD4: 0AC0C0FA FF00007A
	v_mul_f32_dpp v97, v122, v97 quad_perm:[1,1,1,1] row_mask:0xf bank_mask:0xf// 000000004FDC: 0AC2C2FA FF00557A
	v_mul_f32_dpp v98, v122, v98 quad_perm:[2,2,2,2] row_mask:0xf bank_mask:0xf// 000000004FE4: 0AC4C4FA FF00AA7A
	v_mul_f32_dpp v99, v122, v99 quad_perm:[3,3,3,3] row_mask:0xf bank_mask:0xf// 000000004FEC: 0AC6C6FA FF00FF7A
	v_mul_f32_dpp v100, v123, v100 quad_perm:[0,0,0,0] row_mask:0xf bank_mask:0xf// 000000004FF4: 0AC8C8FA FF00007B
	v_mul_f32_dpp v101, v123, v101 quad_perm:[1,1,1,1] row_mask:0xf bank_mask:0xf// 000000004FFC: 0ACACAFA FF00557B
	v_mul_f32_dpp v102, v123, v102 quad_perm:[2,2,2,2] row_mask:0xf bank_mask:0xf// 000000005004: 0ACCCCFA FF00AA7B
	v_mul_f32_dpp v103, v123, v103 quad_perm:[3,3,3,3] row_mask:0xf bank_mask:0xf// 00000000500C: 0ACECEFA FF00FF7B
	s_and_b32 s60, s72, 0xff                                   // 000000005014: 863CFF48 000000FF
	v_mov_b32_e32 v64, s60                                     // 00000000501C: 7E80023C
	v_lshrrev_b32_e32 v80, 4, v0                               // 000000005020: 20A00084
	v_mul_i32_i24_e32 v80, 4, v80                              // 000000005024: 0CA0A084
	s_mul_i32 s60, s7, 16                                      // 000000005028: 923C9007
	v_add_u32_e32 v80, s60, v80                                // 00000000502C: 68A0A03C
	v_add_u32_e32 v81, 1, v80                                  // 000000005030: 68A2A081
	v_add_u32_e32 v82, 2, v80                                  // 000000005034: 68A4A082
	v_add_u32_e32 v83, 3, v80                                  // 000000005038: 68A6A083
	v_cmp_lt_u32_e64 s[40:41], v80, v64                        // 00000000503C: D0C90028 00028150
	v_add_u32_e32 v80, 64, v80                                 // 000000005044: 68A0A0C0
	s_nop 0                                                    // 000000005048: BF800000
	v_cndmask_b32_e64 v88, v54, v88, s[40:41]                  // 00000000504C: D1000058 00A2B136
	v_cmp_lt_u32_e64 s[40:41], v81, v64                        // 000000005054: D0C90028 00028151
	v_add_u32_e32 v81, 64, v81                                 // 00000000505C: 68A2A2C0
	s_nop 0                                                    // 000000005060: BF800000
	v_cndmask_b32_e64 v89, v54, v89, s[40:41]                  // 000000005064: D1000059 00A2B336
	v_cmp_lt_u32_e64 s[40:41], v82, v64                        // 00000000506C: D0C90028 00028152
	v_add_u32_e32 v82, 64, v82                                 // 000000005074: 68A4A4C0
	s_nop 0                                                    // 000000005078: BF800000
	v_cndmask_b32_e64 v90, v54, v90, s[40:41]                  // 00000000507C: D100005A 00A2B536
	v_cmp_lt_u32_e64 s[40:41], v83, v64                        // 000000005084: D0C90028 00028153
	v_add_u32_e32 v83, 64, v83                                 // 00000000508C: 68A6A6C0
	s_nop 0                                                    // 000000005090: BF800000
	v_cndmask_b32_e64 v91, v54, v91, s[40:41]                  // 000000005094: D100005B 00A2B736
	v_cmp_lt_u32_e64 s[40:41], v80, v64                        // 00000000509C: D0C90028 00028150
	v_add_u32_e32 v80, 64, v80                                 // 0000000050A4: 68A0A0C0
	s_nop 0                                                    // 0000000050A8: BF800000
	v_cndmask_b32_e64 v92, v54, v92, s[40:41]                  // 0000000050AC: D100005C 00A2B936
	v_cmp_lt_u32_e64 s[40:41], v81, v64                        // 0000000050B4: D0C90028 00028151
	v_add_u32_e32 v81, 64, v81                                 // 0000000050BC: 68A2A2C0
	s_nop 0                                                    // 0000000050C0: BF800000
	v_cndmask_b32_e64 v93, v54, v93, s[40:41]                  // 0000000050C4: D100005D 00A2BB36
	v_cmp_lt_u32_e64 s[40:41], v82, v64                        // 0000000050CC: D0C90028 00028152
	v_add_u32_e32 v82, 64, v82                                 // 0000000050D4: 68A4A4C0
	s_nop 0                                                    // 0000000050D8: BF800000
	v_cndmask_b32_e64 v94, v54, v94, s[40:41]                  // 0000000050DC: D100005E 00A2BD36
	v_cmp_lt_u32_e64 s[40:41], v83, v64                        // 0000000050E4: D0C90028 00028153
	v_add_u32_e32 v83, 64, v83                                 // 0000000050EC: 68A6A6C0
	s_nop 0                                                    // 0000000050F0: BF800000
	v_cndmask_b32_e64 v95, v54, v95, s[40:41]                  // 0000000050F4: D100005F 00A2BF36
	v_cmp_lt_u32_e64 s[40:41], v80, v64                        // 0000000050FC: D0C90028 00028150
	v_add_u32_e32 v80, 64, v80                                 // 000000005104: 68A0A0C0
	s_nop 0                                                    // 000000005108: BF800000
	v_cndmask_b32_e64 v96, v54, v96, s[40:41]                  // 00000000510C: D1000060 00A2C136
	v_cmp_lt_u32_e64 s[40:41], v81, v64                        // 000000005114: D0C90028 00028151
	v_add_u32_e32 v81, 64, v81                                 // 00000000511C: 68A2A2C0
	s_nop 0                                                    // 000000005120: BF800000
	v_cndmask_b32_e64 v97, v54, v97, s[40:41]                  // 000000005124: D1000061 00A2C336
	v_cmp_lt_u32_e64 s[40:41], v82, v64                        // 00000000512C: D0C90028 00028152
	v_add_u32_e32 v82, 64, v82                                 // 000000005134: 68A4A4C0
	s_nop 0                                                    // 000000005138: BF800000
	v_cndmask_b32_e64 v98, v54, v98, s[40:41]                  // 00000000513C: D1000062 00A2C536
	v_cmp_lt_u32_e64 s[40:41], v83, v64                        // 000000005144: D0C90028 00028153
	v_add_u32_e32 v83, 64, v83                                 // 00000000514C: 68A6A6C0
	s_nop 0                                                    // 000000005150: BF800000
	v_cndmask_b32_e64 v99, v54, v99, s[40:41]                  // 000000005154: D1000063 00A2C736
	v_cmp_lt_u32_e64 s[40:41], v80, v64                        // 00000000515C: D0C90028 00028150
	v_add_u32_e32 v80, 64, v80                                 // 000000005164: 68A0A0C0
	s_nop 0                                                    // 000000005168: BF800000
	v_cndmask_b32_e64 v100, v54, v100, s[40:41]                // 00000000516C: D1000064 00A2C936
	v_cmp_lt_u32_e64 s[40:41], v81, v64                        // 000000005174: D0C90028 00028151
	v_add_u32_e32 v81, 64, v81                                 // 00000000517C: 68A2A2C0
	s_nop 0                                                    // 000000005180: BF800000
	v_cndmask_b32_e64 v101, v54, v101, s[40:41]                // 000000005184: D1000065 00A2CB36
	v_cmp_lt_u32_e64 s[40:41], v82, v64                        // 00000000518C: D0C90028 00028152
	v_add_u32_e32 v82, 64, v82                                 // 000000005194: 68A4A4C0
	s_nop 0                                                    // 000000005198: BF800000
	v_cndmask_b32_e64 v102, v54, v102, s[40:41]                // 00000000519C: D1000066 00A2CD36
	v_cmp_lt_u32_e64 s[40:41], v83, v64                        // 0000000051A4: D0C90028 00028153
	v_add_u32_e32 v83, 64, v83                                 // 0000000051AC: 68A6A6C0
	s_nop 0                                                    // 0000000051B0: BF800000
	v_cndmask_b32_e64 v103, v54, v103, s[40:41]                // 0000000051B4: D1000067 00A2CF36
	v_mov_b32_e32 v50, v88                                     // 0000000051BC: 7E640358
	v_max3_f32 v50, v88, v89, v50                              // 0000000051C0: D1D30032 04CAB358
	v_max3_f32 v50, v90, v91, v50                              // 0000000051C8: D1D30032 04CAB75A
	v_max3_f32 v50, v92, v93, v50                              // 0000000051D0: D1D30032 04CABB5C
	v_max3_f32 v50, v94, v95, v50                              // 0000000051D8: D1D30032 04CABF5E
	v_max3_f32 v50, v96, v97, v50                              // 0000000051E0: D1D30032 04CAC360
	v_max3_f32 v50, v98, v99, v50                              // 0000000051E8: D1D30032 04CAC762
	v_max3_f32 v50, v100, v101, v50                            // 0000000051F0: D1D30032 04CACB64
	v_max3_f32 v50, v102, v103, v50                            // 0000000051F8: D1D30032 04CACF66
	ds_write_b32 v11, v50 offset:4224                          // 000000005200: D81A1080 0000320B
	v_mul_u32_u24_dpp v38, v17, v53 row_newbcast:1 row_mask:0xf bank_mask:0xf// 000000005208: 104C6AFA FF015111
	v_mul_u32_u24_dpp v39, v17, v53 row_newbcast:5 row_mask:0xf bank_mask:0xf// 000000005210: 104E6AFA FF015511
	v_mul_u32_u24_dpp v40, v17, v53 row_newbcast:9 row_mask:0xf bank_mask:0xf// 000000005218: 10506AFA FF015911
	v_mul_u32_u24_dpp v41, v17, v53 row_newbcast:13 row_mask:0xf bank_mask:0xf// 000000005220: 10526AFA FF015D11
	v_add_u32_e32 v34, v38, v7                                 // 000000005228: 68440F26
	v_add_u32_e32 v35, v39, v7                                 // 00000000522C: 68460F27
	v_add_u32_e32 v36, v40, v7                                 // 000000005230: 68480F28
	v_add_u32_e32 v37, v41, v7                                 // 000000005234: 684A0F29
	s_waitcnt lgkmcnt(0)                                       // 000000005238: BF8CC07F
	s_barrier                                                  // 00000000523C: BF8A0000
	ds_read_b32 v64, v10 offset:4224                           // 000000005240: D86C1080 4000000A
	ds_read_b32 v65, v10 offset:4288                           // 000000005248: D86C10C0 4100000A
	ds_read_b32 v66, v10 offset:4352                           // 000000005250: D86C1100 4200000A
	ds_read_b32 v67, v10 offset:4416                           // 000000005258: D86C1140 4300000A
	ds_read_b32 v68, v10 offset:4480                           // 000000005260: D86C1180 4400000A
	ds_read_b32 v69, v10 offset:4544                           // 000000005268: D86C11C0 4500000A
	ds_read_b32 v70, v10 offset:4608                           // 000000005270: D86C1200 4600000A
	ds_read_b32 v71, v10 offset:4672                           // 000000005278: D86C1240 4700000A
	ds_read_b32 v72, v10 offset:4736                           // 000000005280: D86C1280 4800000A
	ds_read_b32 v73, v10 offset:4800                           // 000000005288: D86C12C0 4900000A
	ds_read_b32 v74, v10 offset:4864                           // 000000005290: D86C1300 4A00000A
	ds_read_b32 v75, v10 offset:4928                           // 000000005298: D86C1340 4B00000A
	ds_read_b32 v76, v10 offset:4992                           // 0000000052A0: D86C1380 4C00000A
	ds_read_b32 v77, v10 offset:5056                           // 0000000052A8: D86C13C0 4D00000A
	ds_read_b32 v78, v10 offset:5120                           // 0000000052B0: D86C1400 4E00000A
	ds_read_b32 v79, v10 offset:5184                           // 0000000052B8: D86C1440 4F00000A
	v_mul_f32_e32 v112, v51, v112                              // 0000000052C0: 0AE0E133
	v_mul_f32_e32 v113, v51, v113                              // 0000000052C4: 0AE2E333
	v_mul_f32_e32 v114, v51, v114                              // 0000000052C8: 0AE4E533
	v_mul_f32_e32 v115, v51, v115                              // 0000000052CC: 0AE6E733
	v_mul_f32_e32 v116, v51, v116                              // 0000000052D0: 0AE8E933
	v_mul_f32_e32 v117, v51, v117                              // 0000000052D4: 0AEAEB33
	v_mul_f32_e32 v118, v51, v118                              // 0000000052D8: 0AECED33
	v_mul_f32_e32 v119, v51, v119                              // 0000000052DC: 0AEEEF33
	s_waitcnt lgkmcnt(0)                                       // 0000000052E0: BF8CC07F
	v_max3_f32 v50, v64, v65, v50                              // 0000000052E4: D1D30032 04CA8340
	v_max3_f32 v50, v66, v67, v50                              // 0000000052EC: D1D30032 04CA8742
	v_max3_f32 v50, v68, v69, v50                              // 0000000052F4: D1D30032 04CA8B44
	v_max3_f32 v50, v70, v71, v50                              // 0000000052FC: D1D30032 04CA8F46
	v_max3_f32 v50, v72, v73, v50                              // 000000005304: D1D30032 04CA9348
	v_max3_f32 v50, v74, v75, v50                              // 00000000530C: D1D30032 04CA974A
	v_max3_f32 v50, v76, v77, v50                              // 000000005314: D1D30032 04CA9B4C
	v_max3_f32 v50, v78, v79, v50                              // 00000000531C: D1D30032 04CA9F4E
	v_cmp_eq_u32_e64 s[40:41], v54, v14                        // 000000005324: D0CA0028 00021D36
	s_nop 1                                                    // 00000000532C: BF800001
	v_max_f32_e32 v15, v50, v14                                // 000000005330: 161E1D32
	v_mul_f32_e32 v52, s64, v15                                // 000000005334: 0A681E40
	v_fma_f32 v88, v88, s64, -v52                              // 000000005338: D1CB0058 84D08158
	v_fma_f32 v89, v89, s64, -v52                              // 000000005340: D1CB0059 84D08159
	v_fma_f32 v90, v90, s64, -v52                              // 000000005348: D1CB005A 84D0815A
	v_fma_f32 v91, v91, s64, -v52                              // 000000005350: D1CB005B 84D0815B
	v_fma_f32 v92, v92, s64, -v52                              // 000000005358: D1CB005C 84D0815C
	v_fma_f32 v93, v93, s64, -v52                              // 000000005360: D1CB005D 84D0815D
	v_fma_f32 v94, v94, s64, -v52                              // 000000005368: D1CB005E 84D0815E
	v_fma_f32 v95, v95, s64, -v52                              // 000000005370: D1CB005F 84D0815F
	v_fma_f32 v96, v96, s64, -v52                              // 000000005378: D1CB0060 84D08160
	v_fma_f32 v97, v97, s64, -v52                              // 000000005380: D1CB0061 84D08161
	v_fma_f32 v98, v98, s64, -v52                              // 000000005388: D1CB0062 84D08162
	v_fma_f32 v99, v99, s64, -v52                              // 000000005390: D1CB0063 84D08163
	v_fma_f32 v100, v100, s64, -v52                            // 000000005398: D1CB0064 84D08164
	v_fma_f32 v101, v101, s64, -v52                            // 0000000053A0: D1CB0065 84D08165
	v_fma_f32 v102, v102, s64, -v52                            // 0000000053A8: D1CB0066 84D08166
	v_fma_f32 v103, v103, s64, -v52                            // 0000000053B0: D1CB0067 84D08167
	v_exp_f32_e32 v88, v88                                     // 0000000053B8: 7EB04158
	v_exp_f32_e32 v89, v89                                     // 0000000053BC: 7EB24159
	v_exp_f32_e32 v90, v90                                     // 0000000053C0: 7EB4415A
	v_exp_f32_e32 v91, v91                                     // 0000000053C4: 7EB6415B
	v_exp_f32_e32 v92, v92                                     // 0000000053C8: 7EB8415C
	v_exp_f32_e32 v93, v93                                     // 0000000053CC: 7EBA415D
	v_exp_f32_e32 v94, v94                                     // 0000000053D0: 7EBC415E
	v_exp_f32_e32 v95, v95                                     // 0000000053D4: 7EBE415F
	v_exp_f32_e32 v96, v96                                     // 0000000053D8: 7EC04160
	v_exp_f32_e32 v97, v97                                     // 0000000053DC: 7EC24161
	v_exp_f32_e32 v98, v98                                     // 0000000053E0: 7EC44162
	v_exp_f32_e32 v99, v99                                     // 0000000053E4: 7EC64163
	v_exp_f32_e32 v100, v100                                   // 0000000053E8: 7EC84164
	v_exp_f32_e32 v101, v101                                   // 0000000053EC: 7ECA4165
	v_exp_f32_e32 v102, v102                                   // 0000000053F0: 7ECC4166
	v_exp_f32_e32 v103, v103                                   // 0000000053F4: 7ECE4167
	v_mul_f32_dpp v128, v124, v88 quad_perm:[0,0,0,0] row_mask:0xf bank_mask:0xf// 0000000053F8: 0B00B0FA FF00007C
	v_mul_f32_dpp v129, v124, v89 quad_perm:[1,1,1,1] row_mask:0xf bank_mask:0xf// 000000005400: 0B02B2FA FF00557C
	v_mul_f32_dpp v130, v124, v90 quad_perm:[2,2,2,2] row_mask:0xf bank_mask:0xf// 000000005408: 0B04B4FA FF00AA7C
	v_mul_f32_dpp v131, v124, v91 quad_perm:[3,3,3,3] row_mask:0xf bank_mask:0xf// 000000005410: 0B06B6FA FF00FF7C
	v_mul_f32_dpp v132, v125, v92 quad_perm:[0,0,0,0] row_mask:0xf bank_mask:0xf// 000000005418: 0B08B8FA FF00007D
	v_mul_f32_dpp v133, v125, v93 quad_perm:[1,1,1,1] row_mask:0xf bank_mask:0xf// 000000005420: 0B0ABAFA FF00557D
	v_mul_f32_dpp v134, v125, v94 quad_perm:[2,2,2,2] row_mask:0xf bank_mask:0xf// 000000005428: 0B0CBCFA FF00AA7D
	v_mul_f32_dpp v135, v125, v95 quad_perm:[3,3,3,3] row_mask:0xf bank_mask:0xf// 000000005430: 0B0EBEFA FF00FF7D
	v_mul_f32_dpp v136, v126, v96 quad_perm:[0,0,0,0] row_mask:0xf bank_mask:0xf// 000000005438: 0B10C0FA FF00007E
	v_mul_f32_dpp v137, v126, v97 quad_perm:[1,1,1,1] row_mask:0xf bank_mask:0xf// 000000005440: 0B12C2FA FF00557E
	v_mul_f32_dpp v138, v126, v98 quad_perm:[2,2,2,2] row_mask:0xf bank_mask:0xf// 000000005448: 0B14C4FA FF00AA7E
	v_mul_f32_dpp v139, v126, v99 quad_perm:[3,3,3,3] row_mask:0xf bank_mask:0xf// 000000005450: 0B16C6FA FF00FF7E
	v_mul_f32_dpp v140, v127, v100 quad_perm:[0,0,0,0] row_mask:0xf bank_mask:0xf// 000000005458: 0B18C8FA FF00007F
	v_mul_f32_dpp v141, v127, v101 quad_perm:[1,1,1,1] row_mask:0xf bank_mask:0xf// 000000005460: 0B1ACAFA FF00557F
	v_mul_f32_dpp v142, v127, v102 quad_perm:[2,2,2,2] row_mask:0xf bank_mask:0xf// 000000005468: 0B1CCCFA FF00AA7F
	v_mul_f32_dpp v143, v127, v103 quad_perm:[3,3,3,3] row_mask:0xf bank_mask:0xf// 000000005470: 0B1ECEFA FF00FF7F
	v_mov_b32_e32 v50, 0x358637bd                              // 000000005478: 7E6402FF 358637BD
	v_max3_f32 v50, |v128|, |v129|, v50                        // 000000005480: D1D30332 04CB0380
	v_max3_f32 v50, |v130|, |v131|, v50                        // 000000005488: D1D30332 04CB0782
	v_max3_f32 v50, |v132|, |v133|, v50                        // 000000005490: D1D30332 04CB0B84
	v_max3_f32 v50, |v134|, |v135|, v50                        // 000000005498: D1D30332 04CB0F86
	v_max3_f32 v50, |v136|, |v137|, v50                        // 0000000054A0: D1D30332 04CB1388
	v_max3_f32 v50, |v138|, |v139|, v50                        // 0000000054A8: D1D30332 04CB178A
	v_max3_f32 v50, |v140|, |v141|, v50                        // 0000000054B0: D1D30332 04CB1B8C
	v_max3_f32 v50, |v142|, |v143|, v50                        // 0000000054B8: D1D30332 04CB1F8E
	ds_write_b32 v11, v50 offset:5248                          // 0000000054C0: D81A1480 0000320B
	v_sub_f32_e32 v51, v14, v15                                // 0000000054C8: 04661F0E
	v_cndmask_b32_e64 v51, v51, 0, s[40:41]                    // 0000000054CC: D1000033 00A10133
	v_mov_b32_e32 v14, v15                                     // 0000000054D4: 7E1C030F
	v_mul_f32_e32 v51, s64, v51                                // 0000000054D8: 0A666640
	v_exp_f32_e32 v51, v51                                     // 0000000054DC: 7E664133
	s_waitcnt lgkmcnt(0)                                       // 0000000054E0: BF8CC07F
	s_barrier                                                  // 0000000054E4: BF8A0000
	ds_read_b32 v64, v10 offset:5248                           // 0000000054E8: D86C1480 4000000A
	ds_read_b32 v65, v10 offset:5312                           // 0000000054F0: D86C14C0 4100000A
	ds_read_b32 v66, v10 offset:5376                           // 0000000054F8: D86C1500 4200000A
	ds_read_b32 v67, v10 offset:5440                           // 000000005500: D86C1540 4300000A
	ds_read_b32 v68, v10 offset:5504                           // 000000005508: D86C1580 4400000A
	ds_read_b32 v69, v10 offset:5568                           // 000000005510: D86C15C0 4500000A
	ds_read_b32 v70, v10 offset:5632                           // 000000005518: D86C1600 4600000A
	ds_read_b32 v71, v10 offset:5696                           // 000000005520: D86C1640 4700000A
	ds_read_b32 v72, v10 offset:5760                           // 000000005528: D86C1680 4800000A
	ds_read_b32 v73, v10 offset:5824                           // 000000005530: D86C16C0 4900000A
	ds_read_b32 v74, v10 offset:5888                           // 000000005538: D86C1700 4A00000A
	ds_read_b32 v75, v10 offset:5952                           // 000000005540: D86C1740 4B00000A
	ds_read_b32 v76, v10 offset:6016                           // 000000005548: D86C1780 4C00000A
	ds_read_b32 v77, v10 offset:6080                           // 000000005550: D86C17C0 4D00000A
	ds_read_b32 v78, v10 offset:6144                           // 000000005558: D86C1800 4E00000A
	ds_read_b32 v79, v10 offset:6208                           // 000000005560: D86C1840 4F00000A
	v_mul_f32_e32 v44, v51, v44                                // 000000005568: 0A585933
	v_mov_b32_e32 v45, v88                                     // 00000000556C: 7E5A0358
	v_add_f32_e32 v45, v89, v45                                // 000000005570: 025A5B59
	v_add_f32_e32 v45, v90, v45                                // 000000005574: 025A5B5A
	v_add_f32_e32 v45, v91, v45                                // 000000005578: 025A5B5B
	v_add_f32_e32 v45, v92, v45                                // 00000000557C: 025A5B5C
	v_add_f32_e32 v45, v93, v45                                // 000000005580: 025A5B5D
	v_add_f32_e32 v45, v94, v45                                // 000000005584: 025A5B5E
	v_add_f32_e32 v45, v95, v45                                // 000000005588: 025A5B5F
	v_add_f32_e32 v45, v96, v45                                // 00000000558C: 025A5B60
	v_add_f32_e32 v45, v97, v45                                // 000000005590: 025A5B61
	v_add_f32_e32 v45, v98, v45                                // 000000005594: 025A5B62
	v_add_f32_e32 v45, v99, v45                                // 000000005598: 025A5B63
	v_add_f32_e32 v45, v100, v45                               // 00000000559C: 025A5B64
	v_add_f32_e32 v45, v101, v45                               // 0000000055A0: 025A5B65
	v_add_f32_e32 v45, v102, v45                               // 0000000055A4: 025A5B66
	v_add_f32_e32 v45, v103, v45                               // 0000000055A8: 025A5B67
	v_add_f32_e32 v44, v45, v44                                // 0000000055AC: 0258592D
	s_waitcnt lgkmcnt(0)                                       // 0000000055B0: BF8CC07F
	v_max3_f32 v50, |v64|, |v65|, v50                          // 0000000055B4: D1D30332 04CA8340
	v_max3_f32 v50, |v66|, |v67|, v50                          // 0000000055BC: D1D30332 04CA8742
	v_max3_f32 v50, |v68|, |v69|, v50                          // 0000000055C4: D1D30332 04CA8B44
	v_max3_f32 v50, |v70|, |v71|, v50                          // 0000000055CC: D1D30332 04CA8F46
	v_max3_f32 v50, |v72|, |v73|, v50                          // 0000000055D4: D1D30332 04CA9348
	v_max3_f32 v50, |v74|, |v75|, v50                          // 0000000055DC: D1D30332 04CA974A
	v_max3_f32 v50, |v76|, |v77|, v50                          // 0000000055E4: D1D30332 04CA9B4C
	v_max3_f32 v50, |v78|, |v79|, v50                          // 0000000055EC: D1D30332 04CA9F4E
	s_nop 2                                                    // 0000000055F4: BF800002
	v_rcp_f32_e32 v50, v50                                     // 0000000055F8: 7E644532
	s_nop 1                                                    // 0000000055FC: BF800001
	v_mul_f32_e32 v50, 0x43700000, v50                         // 000000005600: 0A6464FF 43700000
	v_mul_f32_e32 v88, v50, v128                               // 000000005608: 0AB10132
	v_mul_f32_e32 v89, v50, v129                               // 00000000560C: 0AB30332
	v_mul_f32_e32 v90, v50, v130                               // 000000005610: 0AB50532
	v_mul_f32_e32 v91, v50, v131                               // 000000005614: 0AB70732
	v_mul_f32_e32 v92, v50, v132                               // 000000005618: 0AB90932
	v_mul_f32_e32 v93, v50, v133                               // 00000000561C: 0ABB0B32
	v_mul_f32_e32 v94, v50, v134                               // 000000005620: 0ABD0D32
	v_mul_f32_e32 v95, v50, v135                               // 000000005624: 0ABF0F32
	v_mul_f32_e32 v96, v50, v136                               // 000000005628: 0AC11132
	v_mul_f32_e32 v97, v50, v137                               // 00000000562C: 0AC31332
	v_mul_f32_e32 v98, v50, v138                               // 000000005630: 0AC51532
	v_mul_f32_e32 v99, v50, v139                               // 000000005634: 0AC71732
	v_mul_f32_e32 v100, v50, v140                              // 000000005638: 0AC91932
	v_mul_f32_e32 v101, v50, v141                              // 00000000563C: 0ACB1B32
	v_mul_f32_e32 v102, v50, v142                              // 000000005640: 0ACD1D32
	v_mul_f32_e32 v103, v50, v143                              // 000000005644: 0ACF1F32
	v_cvt_pk_fp8_f32 v88, v88, v89                             // 000000005648: D2A20058 0002B358
	v_cvt_pk_fp8_f32 v88, v90, v91 op_sel:[0,0,1]              // 000000005650: D2A24058 0002B75A
	v_cvt_pk_fp8_f32 v89, v92, v93                             // 000000005658: D2A20059 0002BB5C
	v_cvt_pk_fp8_f32 v89, v94, v95 op_sel:[0,0,1]              // 000000005660: D2A24059 0002BF5E
	v_cvt_pk_fp8_f32 v90, v96, v97                             // 000000005668: D2A2005A 0002C360
	v_cvt_pk_fp8_f32 v90, v98, v99 op_sel:[0,0,1]              // 000000005670: D2A2405A 0002C762
	v_cvt_pk_fp8_f32 v91, v100, v101                           // 000000005678: D2A2005B 0002CB64
	v_cvt_pk_fp8_f32 v91, v102, v103 op_sel:[0,0,1]            // 000000005680: D2A2405B 0002CF66
	ds_write_b32 v13, v88 offset:6272                          // 000000005688: D81A1880 0000580D
	ds_write_b32 v13, v89 offset:7296                          // 000000005690: D81A1C80 0000590D
	ds_write_b32 v13, v90 offset:8320                          // 000000005698: D81A2080 00005A0D
	ds_write_b32 v13, v91 offset:9344                          // 0000000056A0: D81A2480 00005B0D
	v_mul_f32_e32 v104, v49, v104                              // 0000000056A8: 0AD0D131
	v_mul_f32_e32 v105, v49, v105                              // 0000000056AC: 0AD2D331
	v_mul_f32_e32 v106, v49, v106                              // 0000000056B0: 0AD4D531
	v_mul_f32_e32 v107, v49, v107                              // 0000000056B4: 0AD6D731
	v_mul_f32_e32 v108, v49, v108                              // 0000000056B8: 0AD8D931
	v_mul_f32_e32 v109, v49, v109                              // 0000000056BC: 0ADADB31
	v_mul_f32_e32 v110, v49, v110                              // 0000000056C0: 0ADCDD31
	v_mul_f32_e32 v111, v49, v111                              // 0000000056C4: 0ADEDF31
	v_rcp_f32_e32 v49, v50                                     // 0000000056C8: 7E624532
	s_waitcnt lgkmcnt(0)                                       // 0000000056CC: BF8CC07F
	s_barrier                                                  // 0000000056D0: BF8A0000
	ds_read_b64 v[88:89], v12 offset:6272                      // 0000000056D4: D8EC1880 5800000C
	ds_read_b64 v[90:91], v12 offset:6400                      // 0000000056DC: D8EC1900 5A00000C
	ds_read_b64 v[92:93], v12 offset:7296                      // 0000000056E4: D8EC1C80 5C00000C
	ds_read_b64 v[94:95], v12 offset:7424                      // 0000000056EC: D8EC1D00 5E00000C
	ds_read_b64 v[96:97], v12 offset:8320                      // 0000000056F4: D8EC2080 6000000C
	ds_read_b64 v[98:99], v12 offset:8448                      // 0000000056FC: D8EC2100 6200000C
	ds_read_b64 v[100:101], v12 offset:9344                    // 000000005704: D8EC2480 6400000C
	ds_read_b64 v[102:103], v12 offset:9472                    // 00000000570C: D8EC2500 6600000C
	v_add_f32_e32 v112, v112, v104                             // 000000005714: 02E0D170
	v_add_f32_e32 v113, v113, v105                             // 000000005718: 02E2D371
	v_add_f32_e32 v114, v114, v106                             // 00000000571C: 02E4D572
	v_add_f32_e32 v115, v115, v107                             // 000000005720: 02E6D773
	v_add_f32_e32 v116, v116, v108                             // 000000005724: 02E8D974
	v_add_f32_e32 v117, v117, v109                             // 000000005728: 02EADB75
	v_add_f32_e32 v118, v118, v110                             // 00000000572C: 02ECDD76
	v_add_f32_e32 v119, v119, v111                             // 000000005730: 02EEDF77
	s_waitcnt vmcnt(0)                                         // 000000005734: BF8C0F70
	s_barrier                                                  // 000000005738: BF8A0000
	v_mfma_f32_16x16x32_fp8_fp8 v[104:107], v[192:193], v[88:89], 0// 00000000573C: D3F30068 0202B1C0
	v_mfma_f32_16x16x32_fp8_fp8 v[104:107], v[194:195], v[90:91], v[104:107]// 000000005744: D3F30068 05A2B5C2
	v_mfma_f32_16x16x32_fp8_fp8 v[104:107], v[196:197], v[92:93], v[104:107]// 00000000574C: D3F30068 05A2B9C4
	v_mfma_f32_16x16x32_fp8_fp8 v[104:107], v[198:199], v[94:95], v[104:107]// 000000005754: D3F30068 05A2BDC6
	v_mfma_f32_16x16x32_fp8_fp8 v[104:107], v[200:201], v[96:97], v[104:107]// 00000000575C: D3F30068 05A2C1C8
	v_mfma_f32_16x16x32_fp8_fp8 v[104:107], v[202:203], v[98:99], v[104:107]// 000000005764: D3F30068 05A2C5CA
	v_mfma_f32_16x16x32_fp8_fp8 v[104:107], v[204:205], v[100:101], v[104:107]// 00000000576C: D3F30068 05A2C9CC
	v_mfma_f32_16x16x32_fp8_fp8 v[104:107], v[206:207], v[102:103], v[104:107]// 000000005774: D3F30068 05A2CDCE
	v_mfma_f32_16x16x32_fp8_fp8 v[108:111], v[208:209], v[88:89], 0// 00000000577C: D3F3006C 0202B1D0
	v_mfma_f32_16x16x32_fp8_fp8 v[108:111], v[210:211], v[90:91], v[108:111]// 000000005784: D3F3006C 05B2B5D2
	v_mfma_f32_16x16x32_fp8_fp8 v[108:111], v[212:213], v[92:93], v[108:111]// 00000000578C: D3F3006C 05B2B9D4
	v_mfma_f32_16x16x32_fp8_fp8 v[108:111], v[214:215], v[94:95], v[108:111]// 000000005794: D3F3006C 05B2BDD6
	v_mfma_f32_16x16x32_fp8_fp8 v[108:111], v[216:217], v[96:97], v[108:111]// 00000000579C: D3F3006C 05B2C1D8
	v_mfma_f32_16x16x32_fp8_fp8 v[108:111], v[218:219], v[98:99], v[108:111]// 0000000057A4: D3F3006C 05B2C5DA
	v_mfma_f32_16x16x32_fp8_fp8 v[108:111], v[220:221], v[100:101], v[108:111]// 0000000057AC: D3F3006C 05B2C9DC
	v_mfma_f32_16x16x32_fp8_fp8 v[108:111], v[222:223], v[102:103], v[108:111]// 0000000057B4: D3F3006C 05B2CDDE
	s_nop 4                                                    // 0000000057BC: BF800004
	s_branch label_1023                                        // 0000000057C0: BF820272

00000000000057c4 <label_0DB1>:
	s_waitcnt vmcnt(8) lgkmcnt(0)                              // 0000000057C4: BF8C0078
	s_barrier                                                  // 0000000057C8: BF8A0000
	v_mfma_f32_16x16x32_fp8_fp8 v[88:91], v[160:161], v[80:81], 0// 0000000057CC: D3F30058 0202A1A0
	v_mfma_f32_16x16x32_fp8_fp8 v[88:91], v[162:163], v[82:83], v[88:91]// 0000000057D4: D3F30058 0562A5A2
	v_mfma_f32_16x16x32_fp8_fp8 v[88:91], v[164:165], v[84:85], v[88:91]// 0000000057DC: D3F30058 0562A9A4
	v_mfma_f32_16x16x32_fp8_fp8 v[88:91], v[166:167], v[86:87], v[88:91]// 0000000057E4: D3F30058 0562ADA6
	v_mfma_f32_16x16x32_fp8_fp8 v[92:95], v[168:169], v[80:81], 0// 0000000057EC: D3F3005C 0202A1A8
	v_mfma_f32_16x16x32_fp8_fp8 v[92:95], v[170:171], v[82:83], v[92:95]// 0000000057F4: D3F3005C 0572A5AA
	v_mfma_f32_16x16x32_fp8_fp8 v[92:95], v[172:173], v[84:85], v[92:95]// 0000000057FC: D3F3005C 0572A9AC
	v_mfma_f32_16x16x32_fp8_fp8 v[92:95], v[174:175], v[86:87], v[92:95]// 000000005804: D3F3005C 0572ADAE
	v_mfma_f32_16x16x32_fp8_fp8 v[96:99], v[176:177], v[80:81], 0// 00000000580C: D3F30060 0202A1B0
	v_mfma_f32_16x16x32_fp8_fp8 v[96:99], v[178:179], v[82:83], v[96:99]// 000000005814: D3F30060 0582A5B2
	v_mfma_f32_16x16x32_fp8_fp8 v[96:99], v[180:181], v[84:85], v[96:99]// 00000000581C: D3F30060 0582A9B4
	v_mfma_f32_16x16x32_fp8_fp8 v[96:99], v[182:183], v[86:87], v[96:99]// 000000005824: D3F30060 0582ADB6
	v_mfma_f32_16x16x32_fp8_fp8 v[100:103], v[184:185], v[80:81], 0// 00000000582C: D3F30064 0202A1B8
	v_mfma_f32_16x16x32_fp8_fp8 v[100:103], v[186:187], v[82:83], v[100:103]// 000000005834: D3F30064 0592A5BA
	v_mfma_f32_16x16x32_fp8_fp8 v[100:103], v[188:189], v[84:85], v[100:103]// 00000000583C: D3F30064 0592A9BC
	v_mfma_f32_16x16x32_fp8_fp8 v[100:103], v[190:191], v[86:87], v[100:103]// 000000005844: D3F30064 0592ADBE
	v_mov_b32_dpp v38, v47 row_shr:4 row_mask:0xf bank_mask:0xf// 00000000584C: 7E4C02FA FF01142F
	v_mov_b32_dpp v39, v47 row_shl:4 row_mask:0xf bank_mask:0xf// 000000005854: 7E4E02FA FF01042F
	v_cndmask_b32_e64 v120, v47, v38, s[44:45]                 // 00000000585C: D1000078 00B24D2F
	v_cndmask_b32_e64 v121, v39, v47, s[44:45]                 // 000000005864: D1000079 00B25F27
	v_mov_b32_dpp v38, v120 row_shr:8 row_mask:0xf bank_mask:0xf// 00000000586C: 7E4C02FA FF011878
	v_mov_b32_dpp v39, v120 row_shl:8 row_mask:0xf bank_mask:0xf// 000000005874: 7E4E02FA FF010878
	v_mov_b32_dpp v40, v121 row_shr:8 row_mask:0xf bank_mask:0xf// 00000000587C: 7E5002FA FF011879
	v_mov_b32_dpp v41, v121 row_shl:8 row_mask:0xf bank_mask:0xf// 000000005884: 7E5202FA FF010879
	v_mov_b32_e32 v42, v120                                    // 00000000588C: 7E540378
	v_mov_b32_e32 v43, v121                                    // 000000005890: 7E560379
	v_cndmask_b32_e64 v120, v42, v38, s[42:43]                 // 000000005894: D1000078 00AA4D2A
	v_cndmask_b32_e64 v122, v42, v39, s[78:79]                 // 00000000589C: D100007A 013A4F2A
	v_cndmask_b32_e64 v121, v43, v40, s[42:43]                 // 0000000058A4: D1000079 00AA512B
	v_cndmask_b32_e64 v123, v43, v41, s[78:79]                 // 0000000058AC: D100007B 013A532B
	v_mov_b32_dpp v38, v58 row_shr:4 row_mask:0xf bank_mask:0xf// 0000000058B4: 7E4C02FA FF01143A
	v_mov_b32_dpp v39, v58 row_shl:4 row_mask:0xf bank_mask:0xf// 0000000058BC: 7E4E02FA FF01043A
	v_cndmask_b32_e64 v124, v58, v38, s[44:45]                 // 0000000058C4: D100007C 00B24D3A
	v_cndmask_b32_e64 v125, v39, v58, s[44:45]                 // 0000000058CC: D100007D 00B27527
	v_mov_b32_dpp v38, v124 row_shr:8 row_mask:0xf bank_mask:0xf// 0000000058D4: 7E4C02FA FF01187C
	v_mov_b32_dpp v39, v124 row_shl:8 row_mask:0xf bank_mask:0xf// 0000000058DC: 7E4E02FA FF01087C
	v_mov_b32_dpp v40, v125 row_shr:8 row_mask:0xf bank_mask:0xf// 0000000058E4: 7E5002FA FF01187D
	v_mov_b32_dpp v41, v125 row_shl:8 row_mask:0xf bank_mask:0xf// 0000000058EC: 7E5202FA FF01087D
	v_mov_b32_e32 v42, v124                                    // 0000000058F4: 7E54037C
	v_mov_b32_e32 v43, v125                                    // 0000000058F8: 7E56037D
	v_cndmask_b32_e64 v124, v42, v38, s[42:43]                 // 0000000058FC: D100007C 00AA4D2A
	v_cndmask_b32_e64 v126, v42, v39, s[78:79]                 // 000000005904: D100007E 013A4F2A
	v_cndmask_b32_e64 v125, v43, v40, s[42:43]                 // 00000000590C: D100007D 00AA512B
	v_cndmask_b32_e64 v127, v43, v41, s[78:79]                 // 000000005914: D100007F 013A532B
	v_mul_f32_e32 v88, v48, v88                                // 00000000591C: 0AB0B130
	v_mul_f32_e32 v89, v48, v89                                // 000000005920: 0AB2B330
	v_mul_f32_e32 v90, v48, v90                                // 000000005924: 0AB4B530
	v_mul_f32_e32 v91, v48, v91                                // 000000005928: 0AB6B730
	v_mul_f32_e32 v92, v48, v92                                // 00000000592C: 0AB8B930
	v_mul_f32_e32 v93, v48, v93                                // 000000005930: 0ABABB30
	v_mul_f32_e32 v94, v48, v94                                // 000000005934: 0ABCBD30
	v_mul_f32_e32 v95, v48, v95                                // 000000005938: 0ABEBF30
	v_mul_f32_e32 v96, v48, v96                                // 00000000593C: 0AC0C130
	v_mul_f32_e32 v97, v48, v97                                // 000000005940: 0AC2C330
	v_mul_f32_e32 v98, v48, v98                                // 000000005944: 0AC4C530
	v_mul_f32_e32 v99, v48, v99                                // 000000005948: 0AC6C730
	v_mul_f32_e32 v100, v48, v100                              // 00000000594C: 0AC8C930
	v_mul_f32_e32 v101, v48, v101                              // 000000005950: 0ACACB30
	v_mul_f32_e32 v102, v48, v102                              // 000000005954: 0ACCCD30
	v_mul_f32_e32 v103, v48, v103                              // 000000005958: 0ACECF30
	v_mul_f32_dpp v88, v120, v88 quad_perm:[0,0,0,0] row_mask:0xf bank_mask:0xf// 00000000595C: 0AB0B0FA FF000078
	v_mul_f32_dpp v89, v120, v89 quad_perm:[1,1,1,1] row_mask:0xf bank_mask:0xf// 000000005964: 0AB2B2FA FF005578
	v_mul_f32_dpp v90, v120, v90 quad_perm:[2,2,2,2] row_mask:0xf bank_mask:0xf// 00000000596C: 0AB4B4FA FF00AA78
	v_mul_f32_dpp v91, v120, v91 quad_perm:[3,3,3,3] row_mask:0xf bank_mask:0xf// 000000005974: 0AB6B6FA FF00FF78
	v_mul_f32_dpp v92, v121, v92 quad_perm:[0,0,0,0] row_mask:0xf bank_mask:0xf// 00000000597C: 0AB8B8FA FF000079
	v_mul_f32_dpp v93, v121, v93 quad_perm:[1,1,1,1] row_mask:0xf bank_mask:0xf// 000000005984: 0ABABAFA FF005579
	v_mul_f32_dpp v94, v121, v94 quad_perm:[2,2,2,2] row_mask:0xf bank_mask:0xf// 00000000598C: 0ABCBCFA FF00AA79
	v_mul_f32_dpp v95, v121, v95 quad_perm:[3,3,3,3] row_mask:0xf bank_mask:0xf// 000000005994: 0ABEBEFA FF00FF79
	v_mul_f32_dpp v96, v122, v96 quad_perm:[0,0,0,0] row_mask:0xf bank_mask:0xf// 00000000599C: 0AC0C0FA FF00007A
	v_mul_f32_dpp v97, v122, v97 quad_perm:[1,1,1,1] row_mask:0xf bank_mask:0xf// 0000000059A4: 0AC2C2FA FF00557A
	v_mul_f32_dpp v98, v122, v98 quad_perm:[2,2,2,2] row_mask:0xf bank_mask:0xf// 0000000059AC: 0AC4C4FA FF00AA7A
	v_mul_f32_dpp v99, v122, v99 quad_perm:[3,3,3,3] row_mask:0xf bank_mask:0xf// 0000000059B4: 0AC6C6FA FF00FF7A
	v_mul_f32_dpp v100, v123, v100 quad_perm:[0,0,0,0] row_mask:0xf bank_mask:0xf// 0000000059BC: 0AC8C8FA FF00007B
	v_mul_f32_dpp v101, v123, v101 quad_perm:[1,1,1,1] row_mask:0xf bank_mask:0xf// 0000000059C4: 0ACACAFA FF00557B
	v_mul_f32_dpp v102, v123, v102 quad_perm:[2,2,2,2] row_mask:0xf bank_mask:0xf// 0000000059CC: 0ACCCCFA FF00AA7B
	v_mul_f32_dpp v103, v123, v103 quad_perm:[3,3,3,3] row_mask:0xf bank_mask:0xf// 0000000059D4: 0ACECEFA FF00FF7B
	s_and_b32 s60, s72, 0xff                                   // 0000000059DC: 863CFF48 000000FF
	v_mov_b32_e32 v64, s60                                     // 0000000059E4: 7E80023C
	v_lshrrev_b32_e32 v80, 4, v0                               // 0000000059E8: 20A00084
	v_mul_i32_i24_e32 v80, 4, v80                              // 0000000059EC: 0CA0A084
	s_mul_i32 s60, s7, 16                                      // 0000000059F0: 923C9007
	v_add_u32_e32 v80, s60, v80                                // 0000000059F4: 68A0A03C
	v_add_u32_e32 v81, 1, v80                                  // 0000000059F8: 68A2A081
	v_add_u32_e32 v82, 2, v80                                  // 0000000059FC: 68A4A082
	v_add_u32_e32 v83, 3, v80                                  // 000000005A00: 68A6A083
	v_cmp_lt_u32_e64 s[40:41], v80, v64                        // 000000005A04: D0C90028 00028150
	v_add_u32_e32 v80, 64, v80                                 // 000000005A0C: 68A0A0C0
	s_nop 0                                                    // 000000005A10: BF800000
	v_cndmask_b32_e64 v88, v54, v88, s[40:41]                  // 000000005A14: D1000058 00A2B136
	v_cmp_lt_u32_e64 s[40:41], v81, v64                        // 000000005A1C: D0C90028 00028151
	v_add_u32_e32 v81, 64, v81                                 // 000000005A24: 68A2A2C0
	s_nop 0                                                    // 000000005A28: BF800000
	v_cndmask_b32_e64 v89, v54, v89, s[40:41]                  // 000000005A2C: D1000059 00A2B336
	v_cmp_lt_u32_e64 s[40:41], v82, v64                        // 000000005A34: D0C90028 00028152
	v_add_u32_e32 v82, 64, v82                                 // 000000005A3C: 68A4A4C0
	s_nop 0                                                    // 000000005A40: BF800000
	v_cndmask_b32_e64 v90, v54, v90, s[40:41]                  // 000000005A44: D100005A 00A2B536
	v_cmp_lt_u32_e64 s[40:41], v83, v64                        // 000000005A4C: D0C90028 00028153
	v_add_u32_e32 v83, 64, v83                                 // 000000005A54: 68A6A6C0
	s_nop 0                                                    // 000000005A58: BF800000
	v_cndmask_b32_e64 v91, v54, v91, s[40:41]                  // 000000005A5C: D100005B 00A2B736
	v_cmp_lt_u32_e64 s[40:41], v80, v64                        // 000000005A64: D0C90028 00028150
	v_add_u32_e32 v80, 64, v80                                 // 000000005A6C: 68A0A0C0
	s_nop 0                                                    // 000000005A70: BF800000
	v_cndmask_b32_e64 v92, v54, v92, s[40:41]                  // 000000005A74: D100005C 00A2B936
	v_cmp_lt_u32_e64 s[40:41], v81, v64                        // 000000005A7C: D0C90028 00028151
	v_add_u32_e32 v81, 64, v81                                 // 000000005A84: 68A2A2C0
	s_nop 0                                                    // 000000005A88: BF800000
	v_cndmask_b32_e64 v93, v54, v93, s[40:41]                  // 000000005A8C: D100005D 00A2BB36
	v_cmp_lt_u32_e64 s[40:41], v82, v64                        // 000000005A94: D0C90028 00028152
	v_add_u32_e32 v82, 64, v82                                 // 000000005A9C: 68A4A4C0
	s_nop 0                                                    // 000000005AA0: BF800000
	v_cndmask_b32_e64 v94, v54, v94, s[40:41]                  // 000000005AA4: D100005E 00A2BD36
	v_cmp_lt_u32_e64 s[40:41], v83, v64                        // 000000005AAC: D0C90028 00028153
	v_add_u32_e32 v83, 64, v83                                 // 000000005AB4: 68A6A6C0
	s_nop 0                                                    // 000000005AB8: BF800000
	v_cndmask_b32_e64 v95, v54, v95, s[40:41]                  // 000000005ABC: D100005F 00A2BF36
	v_cmp_lt_u32_e64 s[40:41], v80, v64                        // 000000005AC4: D0C90028 00028150
	v_add_u32_e32 v80, 64, v80                                 // 000000005ACC: 68A0A0C0
	s_nop 0                                                    // 000000005AD0: BF800000
	v_cndmask_b32_e64 v96, v54, v96, s[40:41]                  // 000000005AD4: D1000060 00A2C136
	v_cmp_lt_u32_e64 s[40:41], v81, v64                        // 000000005ADC: D0C90028 00028151
	v_add_u32_e32 v81, 64, v81                                 // 000000005AE4: 68A2A2C0
	s_nop 0                                                    // 000000005AE8: BF800000
	v_cndmask_b32_e64 v97, v54, v97, s[40:41]                  // 000000005AEC: D1000061 00A2C336
	v_cmp_lt_u32_e64 s[40:41], v82, v64                        // 000000005AF4: D0C90028 00028152
	v_add_u32_e32 v82, 64, v82                                 // 000000005AFC: 68A4A4C0
	s_nop 0                                                    // 000000005B00: BF800000
	v_cndmask_b32_e64 v98, v54, v98, s[40:41]                  // 000000005B04: D1000062 00A2C536
	v_cmp_lt_u32_e64 s[40:41], v83, v64                        // 000000005B0C: D0C90028 00028153
	v_add_u32_e32 v83, 64, v83                                 // 000000005B14: 68A6A6C0
	s_nop 0                                                    // 000000005B18: BF800000
	v_cndmask_b32_e64 v99, v54, v99, s[40:41]                  // 000000005B1C: D1000063 00A2C736
	v_cmp_lt_u32_e64 s[40:41], v80, v64                        // 000000005B24: D0C90028 00028150
	v_add_u32_e32 v80, 64, v80                                 // 000000005B2C: 68A0A0C0
	s_nop 0                                                    // 000000005B30: BF800000
	v_cndmask_b32_e64 v100, v54, v100, s[40:41]                // 000000005B34: D1000064 00A2C936
	v_cmp_lt_u32_e64 s[40:41], v81, v64                        // 000000005B3C: D0C90028 00028151
	v_add_u32_e32 v81, 64, v81                                 // 000000005B44: 68A2A2C0
	s_nop 0                                                    // 000000005B48: BF800000
	v_cndmask_b32_e64 v101, v54, v101, s[40:41]                // 000000005B4C: D1000065 00A2CB36
	v_cmp_lt_u32_e64 s[40:41], v82, v64                        // 000000005B54: D0C90028 00028152
	v_add_u32_e32 v82, 64, v82                                 // 000000005B5C: 68A4A4C0
	s_nop 0                                                    // 000000005B60: BF800000
	v_cndmask_b32_e64 v102, v54, v102, s[40:41]                // 000000005B64: D1000066 00A2CD36
	v_cmp_lt_u32_e64 s[40:41], v83, v64                        // 000000005B6C: D0C90028 00028153
	v_add_u32_e32 v83, 64, v83                                 // 000000005B74: 68A6A6C0
	s_nop 0                                                    // 000000005B78: BF800000
	v_cndmask_b32_e64 v103, v54, v103, s[40:41]                // 000000005B7C: D1000067 00A2CF36
	v_mov_b32_e32 v50, v88                                     // 000000005B84: 7E640358
	v_max3_f32 v50, v88, v89, v50                              // 000000005B88: D1D30032 04CAB358
	v_max3_f32 v50, v90, v91, v50                              // 000000005B90: D1D30032 04CAB75A
	v_max3_f32 v50, v92, v93, v50                              // 000000005B98: D1D30032 04CABB5C
	v_max3_f32 v50, v94, v95, v50                              // 000000005BA0: D1D30032 04CABF5E
	v_max3_f32 v50, v96, v97, v50                              // 000000005BA8: D1D30032 04CAC360
	v_max3_f32 v50, v98, v99, v50                              // 000000005BB0: D1D30032 04CAC762
	v_max3_f32 v50, v100, v101, v50                            // 000000005BB8: D1D30032 04CACB64
	v_max3_f32 v50, v102, v103, v50                            // 000000005BC0: D1D30032 04CACF66
	ds_write_b32 v11, v50 offset:4224                          // 000000005BC8: D81A1080 0000320B
	v_mul_u32_u24_dpp v38, v16, v53 row_newbcast:1 row_mask:0xf bank_mask:0xf// 000000005BD0: 104C6AFA FF015110
	v_mul_u32_u24_dpp v39, v16, v53 row_newbcast:5 row_mask:0xf bank_mask:0xf// 000000005BD8: 104E6AFA FF015510
	v_mul_u32_u24_dpp v40, v16, v53 row_newbcast:9 row_mask:0xf bank_mask:0xf// 000000005BE0: 10506AFA FF015910
	v_mul_u32_u24_dpp v41, v16, v53 row_newbcast:13 row_mask:0xf bank_mask:0xf// 000000005BE8: 10526AFA FF015D10
	v_add_u32_e32 v30, v38, v7                                 // 000000005BF0: 683C0F26
	v_add_u32_e32 v31, v39, v7                                 // 000000005BF4: 683E0F27
	v_add_u32_e32 v32, v40, v7                                 // 000000005BF8: 68400F28
	v_add_u32_e32 v33, v41, v7                                 // 000000005BFC: 68420F29
	s_waitcnt lgkmcnt(0)                                       // 000000005C00: BF8CC07F
	s_barrier                                                  // 000000005C04: BF8A0000
	ds_read_b32 v64, v10 offset:4224                           // 000000005C08: D86C1080 4000000A
	ds_read_b32 v65, v10 offset:4288                           // 000000005C10: D86C10C0 4100000A
	ds_read_b32 v66, v10 offset:4352                           // 000000005C18: D86C1100 4200000A
	ds_read_b32 v67, v10 offset:4416                           // 000000005C20: D86C1140 4300000A
	ds_read_b32 v68, v10 offset:4480                           // 000000005C28: D86C1180 4400000A
	ds_read_b32 v69, v10 offset:4544                           // 000000005C30: D86C11C0 4500000A
	ds_read_b32 v70, v10 offset:4608                           // 000000005C38: D86C1200 4600000A
	ds_read_b32 v71, v10 offset:4672                           // 000000005C40: D86C1240 4700000A
	ds_read_b32 v72, v10 offset:4736                           // 000000005C48: D86C1280 4800000A
	ds_read_b32 v73, v10 offset:4800                           // 000000005C50: D86C12C0 4900000A
	ds_read_b32 v74, v10 offset:4864                           // 000000005C58: D86C1300 4A00000A
	ds_read_b32 v75, v10 offset:4928                           // 000000005C60: D86C1340 4B00000A
	ds_read_b32 v76, v10 offset:4992                           // 000000005C68: D86C1380 4C00000A
	ds_read_b32 v77, v10 offset:5056                           // 000000005C70: D86C13C0 4D00000A
	ds_read_b32 v78, v10 offset:5120                           // 000000005C78: D86C1400 4E00000A
	ds_read_b32 v79, v10 offset:5184                           // 000000005C80: D86C1440 4F00000A
	v_mul_f32_e32 v112, v51, v112                              // 000000005C88: 0AE0E133
	v_mul_f32_e32 v113, v51, v113                              // 000000005C8C: 0AE2E333
	v_mul_f32_e32 v114, v51, v114                              // 000000005C90: 0AE4E533
	v_mul_f32_e32 v115, v51, v115                              // 000000005C94: 0AE6E733
	v_mul_f32_e32 v116, v51, v116                              // 000000005C98: 0AE8E933
	v_mul_f32_e32 v117, v51, v117                              // 000000005C9C: 0AEAEB33
	v_mul_f32_e32 v118, v51, v118                              // 000000005CA0: 0AECED33
	v_mul_f32_e32 v119, v51, v119                              // 000000005CA4: 0AEEEF33
	s_waitcnt lgkmcnt(0)                                       // 000000005CA8: BF8CC07F
	v_max3_f32 v50, v64, v65, v50                              // 000000005CAC: D1D30032 04CA8340
	v_max3_f32 v50, v66, v67, v50                              // 000000005CB4: D1D30032 04CA8742
	v_max3_f32 v50, v68, v69, v50                              // 000000005CBC: D1D30032 04CA8B44
	v_max3_f32 v50, v70, v71, v50                              // 000000005CC4: D1D30032 04CA8F46
	v_max3_f32 v50, v72, v73, v50                              // 000000005CCC: D1D30032 04CA9348
	v_max3_f32 v50, v74, v75, v50                              // 000000005CD4: D1D30032 04CA974A
	v_max3_f32 v50, v76, v77, v50                              // 000000005CDC: D1D30032 04CA9B4C
	v_max3_f32 v50, v78, v79, v50                              // 000000005CE4: D1D30032 04CA9F4E
	v_cmp_eq_u32_e64 s[40:41], v54, v14                        // 000000005CEC: D0CA0028 00021D36
	s_nop 1                                                    // 000000005CF4: BF800001
	v_max_f32_e32 v15, v50, v14                                // 000000005CF8: 161E1D32
	v_mul_f32_e32 v52, s64, v15                                // 000000005CFC: 0A681E40
	v_fma_f32 v88, v88, s64, -v52                              // 000000005D00: D1CB0058 84D08158
	v_fma_f32 v89, v89, s64, -v52                              // 000000005D08: D1CB0059 84D08159
	v_fma_f32 v90, v90, s64, -v52                              // 000000005D10: D1CB005A 84D0815A
	v_fma_f32 v91, v91, s64, -v52                              // 000000005D18: D1CB005B 84D0815B
	v_fma_f32 v92, v92, s64, -v52                              // 000000005D20: D1CB005C 84D0815C
	v_fma_f32 v93, v93, s64, -v52                              // 000000005D28: D1CB005D 84D0815D
	v_fma_f32 v94, v94, s64, -v52                              // 000000005D30: D1CB005E 84D0815E
	v_fma_f32 v95, v95, s64, -v52                              // 000000005D38: D1CB005F 84D0815F
	v_fma_f32 v96, v96, s64, -v52                              // 000000005D40: D1CB0060 84D08160
	v_fma_f32 v97, v97, s64, -v52                              // 000000005D48: D1CB0061 84D08161
	v_fma_f32 v98, v98, s64, -v52                              // 000000005D50: D1CB0062 84D08162
	v_fma_f32 v99, v99, s64, -v52                              // 000000005D58: D1CB0063 84D08163
	v_fma_f32 v100, v100, s64, -v52                            // 000000005D60: D1CB0064 84D08164
	v_fma_f32 v101, v101, s64, -v52                            // 000000005D68: D1CB0065 84D08165
	v_fma_f32 v102, v102, s64, -v52                            // 000000005D70: D1CB0066 84D08166
	v_fma_f32 v103, v103, s64, -v52                            // 000000005D78: D1CB0067 84D08167
	v_exp_f32_e32 v88, v88                                     // 000000005D80: 7EB04158
	v_exp_f32_e32 v89, v89                                     // 000000005D84: 7EB24159
	v_exp_f32_e32 v90, v90                                     // 000000005D88: 7EB4415A
	v_exp_f32_e32 v91, v91                                     // 000000005D8C: 7EB6415B
	v_exp_f32_e32 v92, v92                                     // 000000005D90: 7EB8415C
	v_exp_f32_e32 v93, v93                                     // 000000005D94: 7EBA415D
	v_exp_f32_e32 v94, v94                                     // 000000005D98: 7EBC415E
	v_exp_f32_e32 v95, v95                                     // 000000005D9C: 7EBE415F
	v_exp_f32_e32 v96, v96                                     // 000000005DA0: 7EC04160
	v_exp_f32_e32 v97, v97                                     // 000000005DA4: 7EC24161
	v_exp_f32_e32 v98, v98                                     // 000000005DA8: 7EC44162
	v_exp_f32_e32 v99, v99                                     // 000000005DAC: 7EC64163
	v_exp_f32_e32 v100, v100                                   // 000000005DB0: 7EC84164
	v_exp_f32_e32 v101, v101                                   // 000000005DB4: 7ECA4165
	v_exp_f32_e32 v102, v102                                   // 000000005DB8: 7ECC4166
	v_exp_f32_e32 v103, v103                                   // 000000005DBC: 7ECE4167
	v_mul_f32_dpp v160, v124, v88 quad_perm:[0,0,0,0] row_mask:0xf bank_mask:0xf// 000000005DC0: 0B40B0FA FF00007C
	v_mul_f32_dpp v161, v124, v89 quad_perm:[1,1,1,1] row_mask:0xf bank_mask:0xf// 000000005DC8: 0B42B2FA FF00557C
	v_mul_f32_dpp v162, v124, v90 quad_perm:[2,2,2,2] row_mask:0xf bank_mask:0xf// 000000005DD0: 0B44B4FA FF00AA7C
	v_mul_f32_dpp v163, v124, v91 quad_perm:[3,3,3,3] row_mask:0xf bank_mask:0xf// 000000005DD8: 0B46B6FA FF00FF7C
	v_mul_f32_dpp v164, v125, v92 quad_perm:[0,0,0,0] row_mask:0xf bank_mask:0xf// 000000005DE0: 0B48B8FA FF00007D
	v_mul_f32_dpp v165, v125, v93 quad_perm:[1,1,1,1] row_mask:0xf bank_mask:0xf// 000000005DE8: 0B4ABAFA FF00557D
	v_mul_f32_dpp v166, v125, v94 quad_perm:[2,2,2,2] row_mask:0xf bank_mask:0xf// 000000005DF0: 0B4CBCFA FF00AA7D
	v_mul_f32_dpp v167, v125, v95 quad_perm:[3,3,3,3] row_mask:0xf bank_mask:0xf// 000000005DF8: 0B4EBEFA FF00FF7D
	v_mul_f32_dpp v168, v126, v96 quad_perm:[0,0,0,0] row_mask:0xf bank_mask:0xf// 000000005E00: 0B50C0FA FF00007E
	v_mul_f32_dpp v169, v126, v97 quad_perm:[1,1,1,1] row_mask:0xf bank_mask:0xf// 000000005E08: 0B52C2FA FF00557E
	v_mul_f32_dpp v170, v126, v98 quad_perm:[2,2,2,2] row_mask:0xf bank_mask:0xf// 000000005E10: 0B54C4FA FF00AA7E
	v_mul_f32_dpp v171, v126, v99 quad_perm:[3,3,3,3] row_mask:0xf bank_mask:0xf// 000000005E18: 0B56C6FA FF00FF7E
	v_mul_f32_dpp v172, v127, v100 quad_perm:[0,0,0,0] row_mask:0xf bank_mask:0xf// 000000005E20: 0B58C8FA FF00007F
	v_mul_f32_dpp v173, v127, v101 quad_perm:[1,1,1,1] row_mask:0xf bank_mask:0xf// 000000005E28: 0B5ACAFA FF00557F
	v_mul_f32_dpp v174, v127, v102 quad_perm:[2,2,2,2] row_mask:0xf bank_mask:0xf// 000000005E30: 0B5CCCFA FF00AA7F
	v_mul_f32_dpp v175, v127, v103 quad_perm:[3,3,3,3] row_mask:0xf bank_mask:0xf// 000000005E38: 0B5ECEFA FF00FF7F
	v_mov_b32_e32 v50, 0x358637bd                              // 000000005E40: 7E6402FF 358637BD
	v_max3_f32 v50, |v160|, |v161|, v50                        // 000000005E48: D1D30332 04CB43A0
	v_max3_f32 v50, |v162|, |v163|, v50                        // 000000005E50: D1D30332 04CB47A2
	v_max3_f32 v50, |v164|, |v165|, v50                        // 000000005E58: D1D30332 04CB4BA4
	v_max3_f32 v50, |v166|, |v167|, v50                        // 000000005E60: D1D30332 04CB4FA6
	v_max3_f32 v50, |v168|, |v169|, v50                        // 000000005E68: D1D30332 04CB53A8
	v_max3_f32 v50, |v170|, |v171|, v50                        // 000000005E70: D1D30332 04CB57AA
	v_max3_f32 v50, |v172|, |v173|, v50                        // 000000005E78: D1D30332 04CB5BAC
	v_max3_f32 v50, |v174|, |v175|, v50                        // 000000005E80: D1D30332 04CB5FAE
	ds_write_b32 v11, v50 offset:5248                          // 000000005E88: D81A1480 0000320B
	v_sub_f32_e32 v51, v14, v15                                // 000000005E90: 04661F0E
	v_cndmask_b32_e64 v51, v51, 0, s[40:41]                    // 000000005E94: D1000033 00A10133
	v_mov_b32_e32 v14, v15                                     // 000000005E9C: 7E1C030F
	v_mul_f32_e32 v51, s64, v51                                // 000000005EA0: 0A666640
	v_exp_f32_e32 v51, v51                                     // 000000005EA4: 7E664133
	s_waitcnt lgkmcnt(0)                                       // 000000005EA8: BF8CC07F
	s_barrier                                                  // 000000005EAC: BF8A0000
	ds_read_b32 v64, v10 offset:5248                           // 000000005EB0: D86C1480 4000000A
	ds_read_b32 v65, v10 offset:5312                           // 000000005EB8: D86C14C0 4100000A
	ds_read_b32 v66, v10 offset:5376                           // 000000005EC0: D86C1500 4200000A
	ds_read_b32 v67, v10 offset:5440                           // 000000005EC8: D86C1540 4300000A
	ds_read_b32 v68, v10 offset:5504                           // 000000005ED0: D86C1580 4400000A
	ds_read_b32 v69, v10 offset:5568                           // 000000005ED8: D86C15C0 4500000A
	ds_read_b32 v70, v10 offset:5632                           // 000000005EE0: D86C1600 4600000A
	ds_read_b32 v71, v10 offset:5696                           // 000000005EE8: D86C1640 4700000A
	ds_read_b32 v72, v10 offset:5760                           // 000000005EF0: D86C1680 4800000A
	ds_read_b32 v73, v10 offset:5824                           // 000000005EF8: D86C16C0 4900000A
	ds_read_b32 v74, v10 offset:5888                           // 000000005F00: D86C1700 4A00000A
	ds_read_b32 v75, v10 offset:5952                           // 000000005F08: D86C1740 4B00000A
	ds_read_b32 v76, v10 offset:6016                           // 000000005F10: D86C1780 4C00000A
	ds_read_b32 v77, v10 offset:6080                           // 000000005F18: D86C17C0 4D00000A
	ds_read_b32 v78, v10 offset:6144                           // 000000005F20: D86C1800 4E00000A
	ds_read_b32 v79, v10 offset:6208                           // 000000005F28: D86C1840 4F00000A
	v_mul_f32_e32 v44, v51, v44                                // 000000005F30: 0A585933
	v_mov_b32_e32 v45, v88                                     // 000000005F34: 7E5A0358
	v_add_f32_e32 v45, v89, v45                                // 000000005F38: 025A5B59
	v_add_f32_e32 v45, v90, v45                                // 000000005F3C: 025A5B5A
	v_add_f32_e32 v45, v91, v45                                // 000000005F40: 025A5B5B
	v_add_f32_e32 v45, v92, v45                                // 000000005F44: 025A5B5C
	v_add_f32_e32 v45, v93, v45                                // 000000005F48: 025A5B5D
	v_add_f32_e32 v45, v94, v45                                // 000000005F4C: 025A5B5E
	v_add_f32_e32 v45, v95, v45                                // 000000005F50: 025A5B5F
	v_add_f32_e32 v45, v96, v45                                // 000000005F54: 025A5B60
	v_add_f32_e32 v45, v97, v45                                // 000000005F58: 025A5B61
	v_add_f32_e32 v45, v98, v45                                // 000000005F5C: 025A5B62
	v_add_f32_e32 v45, v99, v45                                // 000000005F60: 025A5B63
	v_add_f32_e32 v45, v100, v45                               // 000000005F64: 025A5B64
	v_add_f32_e32 v45, v101, v45                               // 000000005F68: 025A5B65
	v_add_f32_e32 v45, v102, v45                               // 000000005F6C: 025A5B66
	v_add_f32_e32 v45, v103, v45                               // 000000005F70: 025A5B67
	v_add_f32_e32 v44, v45, v44                                // 000000005F74: 0258592D
	s_waitcnt lgkmcnt(0)                                       // 000000005F78: BF8CC07F
	v_max3_f32 v50, |v64|, |v65|, v50                          // 000000005F7C: D1D30332 04CA8340
	v_max3_f32 v50, |v66|, |v67|, v50                          // 000000005F84: D1D30332 04CA8742
	v_max3_f32 v50, |v68|, |v69|, v50                          // 000000005F8C: D1D30332 04CA8B44
	v_max3_f32 v50, |v70|, |v71|, v50                          // 000000005F94: D1D30332 04CA8F46
	v_max3_f32 v50, |v72|, |v73|, v50                          // 000000005F9C: D1D30332 04CA9348
	v_max3_f32 v50, |v74|, |v75|, v50                          // 000000005FA4: D1D30332 04CA974A
	v_max3_f32 v50, |v76|, |v77|, v50                          // 000000005FAC: D1D30332 04CA9B4C
	v_max3_f32 v50, |v78|, |v79|, v50                          // 000000005FB4: D1D30332 04CA9F4E
	s_nop 2                                                    // 000000005FBC: BF800002
	v_rcp_f32_e32 v50, v50                                     // 000000005FC0: 7E644532
	s_nop 1                                                    // 000000005FC4: BF800001
	v_mul_f32_e32 v50, 0x43700000, v50                         // 000000005FC8: 0A6464FF 43700000
	v_mul_f32_e32 v88, v50, v160                               // 000000005FD0: 0AB14132
	v_mul_f32_e32 v89, v50, v161                               // 000000005FD4: 0AB34332
	v_mul_f32_e32 v90, v50, v162                               // 000000005FD8: 0AB54532
	v_mul_f32_e32 v91, v50, v163                               // 000000005FDC: 0AB74732
	v_mul_f32_e32 v92, v50, v164                               // 000000005FE0: 0AB94932
	v_mul_f32_e32 v93, v50, v165                               // 000000005FE4: 0ABB4B32
	v_mul_f32_e32 v94, v50, v166                               // 000000005FE8: 0ABD4D32
	v_mul_f32_e32 v95, v50, v167                               // 000000005FEC: 0ABF4F32
	v_mul_f32_e32 v96, v50, v168                               // 000000005FF0: 0AC15132
	v_mul_f32_e32 v97, v50, v169                               // 000000005FF4: 0AC35332
	v_mul_f32_e32 v98, v50, v170                               // 000000005FF8: 0AC55532
	v_mul_f32_e32 v99, v50, v171                               // 000000005FFC: 0AC75732
	v_mul_f32_e32 v100, v50, v172                              // 000000006000: 0AC95932
	v_mul_f32_e32 v101, v50, v173                              // 000000006004: 0ACB5B32
	v_mul_f32_e32 v102, v50, v174                              // 000000006008: 0ACD5D32
	v_mul_f32_e32 v103, v50, v175                              // 00000000600C: 0ACF5F32
	v_cvt_pk_fp8_f32 v88, v88, v89                             // 000000006010: D2A20058 0002B358
	v_cvt_pk_fp8_f32 v88, v90, v91 op_sel:[0,0,1]              // 000000006018: D2A24058 0002B75A
	v_cvt_pk_fp8_f32 v89, v92, v93                             // 000000006020: D2A20059 0002BB5C
	v_cvt_pk_fp8_f32 v89, v94, v95 op_sel:[0,0,1]              // 000000006028: D2A24059 0002BF5E
	v_cvt_pk_fp8_f32 v90, v96, v97                             // 000000006030: D2A2005A 0002C360
	v_cvt_pk_fp8_f32 v90, v98, v99 op_sel:[0,0,1]              // 000000006038: D2A2405A 0002C762
	v_cvt_pk_fp8_f32 v91, v100, v101                           // 000000006040: D2A2005B 0002CB64
	v_cvt_pk_fp8_f32 v91, v102, v103 op_sel:[0,0,1]            // 000000006048: D2A2405B 0002CF66
	ds_write_b32 v13, v88 offset:6272                          // 000000006050: D81A1880 0000580D
	ds_write_b32 v13, v89 offset:7296                          // 000000006058: D81A1C80 0000590D
	ds_write_b32 v13, v90 offset:8320                          // 000000006060: D81A2080 00005A0D
	ds_write_b32 v13, v91 offset:9344                          // 000000006068: D81A2480 00005B0D
	v_mul_f32_e32 v104, v49, v104                              // 000000006070: 0AD0D131
	v_mul_f32_e32 v105, v49, v105                              // 000000006074: 0AD2D331
	v_mul_f32_e32 v106, v49, v106                              // 000000006078: 0AD4D531
	v_mul_f32_e32 v107, v49, v107                              // 00000000607C: 0AD6D731
	v_mul_f32_e32 v108, v49, v108                              // 000000006080: 0AD8D931
	v_mul_f32_e32 v109, v49, v109                              // 000000006084: 0ADADB31
	v_mul_f32_e32 v110, v49, v110                              // 000000006088: 0ADCDD31
	v_mul_f32_e32 v111, v49, v111                              // 00000000608C: 0ADEDF31
	v_rcp_f32_e32 v49, v50                                     // 000000006090: 7E624532
	s_waitcnt lgkmcnt(0)                                       // 000000006094: BF8CC07F
	s_barrier                                                  // 000000006098: BF8A0000
	ds_read_b64 v[88:89], v12 offset:6272                      // 00000000609C: D8EC1880 5800000C
	ds_read_b64 v[90:91], v12 offset:6400                      // 0000000060A4: D8EC1900 5A00000C
	ds_read_b64 v[92:93], v12 offset:7296                      // 0000000060AC: D8EC1C80 5C00000C
	ds_read_b64 v[94:95], v12 offset:7424                      // 0000000060B4: D8EC1D00 5E00000C
	ds_read_b64 v[96:97], v12 offset:8320                      // 0000000060BC: D8EC2080 6000000C
	ds_read_b64 v[98:99], v12 offset:8448                      // 0000000060C4: D8EC2100 6200000C
	ds_read_b64 v[100:101], v12 offset:9344                    // 0000000060CC: D8EC2480 6400000C
	ds_read_b64 v[102:103], v12 offset:9472                    // 0000000060D4: D8EC2500 6600000C
	v_add_f32_e32 v112, v112, v104                             // 0000000060DC: 02E0D170
	v_add_f32_e32 v113, v113, v105                             // 0000000060E0: 02E2D371
	v_add_f32_e32 v114, v114, v106                             // 0000000060E4: 02E4D572
	v_add_f32_e32 v115, v115, v107                             // 0000000060E8: 02E6D773
	v_add_f32_e32 v116, v116, v108                             // 0000000060EC: 02E8D974
	v_add_f32_e32 v117, v117, v109                             // 0000000060F0: 02EADB75
	v_add_f32_e32 v118, v118, v110                             // 0000000060F4: 02ECDD76
	v_add_f32_e32 v119, v119, v111                             // 0000000060F8: 02EEDF77
	s_waitcnt vmcnt(0)                                         // 0000000060FC: BF8C0F70
	s_barrier                                                  // 000000006100: BF8A0000
	v_mfma_f32_16x16x32_fp8_fp8 v[104:107], v[224:225], v[88:89], 0// 000000006104: D3F30068 0202B1E0
	v_mfma_f32_16x16x32_fp8_fp8 v[104:107], v[226:227], v[90:91], v[104:107]// 00000000610C: D3F30068 05A2B5E2
	v_mfma_f32_16x16x32_fp8_fp8 v[104:107], v[228:229], v[92:93], v[104:107]// 000000006114: D3F30068 05A2B9E4
	v_mfma_f32_16x16x32_fp8_fp8 v[104:107], v[230:231], v[94:95], v[104:107]// 00000000611C: D3F30068 05A2BDE6
	v_mfma_f32_16x16x32_fp8_fp8 v[104:107], v[232:233], v[96:97], v[104:107]// 000000006124: D3F30068 05A2C1E8
	v_mfma_f32_16x16x32_fp8_fp8 v[104:107], v[234:235], v[98:99], v[104:107]// 00000000612C: D3F30068 05A2C5EA
	v_mfma_f32_16x16x32_fp8_fp8 v[104:107], v[236:237], v[100:101], v[104:107]// 000000006134: D3F30068 05A2C9EC
	v_mfma_f32_16x16x32_fp8_fp8 v[104:107], v[238:239], v[102:103], v[104:107]// 00000000613C: D3F30068 05A2CDEE
	v_mfma_f32_16x16x32_fp8_fp8 v[108:111], v[240:241], v[88:89], 0// 000000006144: D3F3006C 0202B1F0
	v_mfma_f32_16x16x32_fp8_fp8 v[108:111], v[242:243], v[90:91], v[108:111]// 00000000614C: D3F3006C 05B2B5F2
	v_mfma_f32_16x16x32_fp8_fp8 v[108:111], v[244:245], v[92:93], v[108:111]// 000000006154: D3F3006C 05B2B9F4
	v_mfma_f32_16x16x32_fp8_fp8 v[108:111], v[246:247], v[94:95], v[108:111]// 00000000615C: D3F3006C 05B2BDF6
	v_mfma_f32_16x16x32_fp8_fp8 v[108:111], v[248:249], v[96:97], v[108:111]// 000000006164: D3F3006C 05B2C1F8
	v_mfma_f32_16x16x32_fp8_fp8 v[108:111], v[250:251], v[98:99], v[108:111]// 00000000616C: D3F3006C 05B2C5FA
	v_mfma_f32_16x16x32_fp8_fp8 v[108:111], v[252:253], v[100:101], v[108:111]// 000000006174: D3F3006C 05B2C9FC
	v_mfma_f32_16x16x32_fp8_fp8 v[108:111], v[254:255], v[102:103], v[108:111]// 00000000617C: D3F3006C 05B2CDFE
	s_nop 4                                                    // 000000006184: BF800004
	s_branch label_1023                                        // 000000006188: BF820000

000000000000618c <label_1023>:
	v_mul_f32_e32 v112, v51, v112                              // 00000000618C: 0AE0E133
	v_mul_f32_e32 v113, v51, v113                              // 000000006190: 0AE2E333
	v_mul_f32_e32 v114, v51, v114                              // 000000006194: 0AE4E533
	v_mul_f32_e32 v115, v51, v115                              // 000000006198: 0AE6E733
	v_mul_f32_e32 v116, v51, v116                              // 00000000619C: 0AE8E933
	v_mul_f32_e32 v117, v51, v117                              // 0000000061A0: 0AEAEB33
	v_mul_f32_e32 v118, v51, v118                              // 0000000061A4: 0AECED33
	v_mul_f32_e32 v119, v51, v119                              // 0000000061A8: 0AEEEF33
	v_mul_f32_e32 v104, v49, v104                              // 0000000061AC: 0AD0D131
	v_mul_f32_e32 v105, v49, v105                              // 0000000061B0: 0AD2D331
	v_mul_f32_e32 v106, v49, v106                              // 0000000061B4: 0AD4D531
	v_mul_f32_e32 v107, v49, v107                              // 0000000061B8: 0AD6D731
	v_mul_f32_e32 v108, v49, v108                              // 0000000061BC: 0AD8D931
	v_mul_f32_e32 v109, v49, v109                              // 0000000061C0: 0ADADB31
	v_mul_f32_e32 v110, v49, v110                              // 0000000061C4: 0ADCDD31
	v_mul_f32_e32 v111, v49, v111                              // 0000000061C8: 0ADEDF31
	v_add_f32_e32 v112, v112, v104                             // 0000000061CC: 02E0D170
	v_add_f32_e32 v113, v113, v105                             // 0000000061D0: 02E2D371
	v_add_f32_e32 v114, v114, v106                             // 0000000061D4: 02E4D572
	v_add_f32_e32 v115, v115, v107                             // 0000000061D8: 02E6D773
	v_add_f32_e32 v116, v116, v108                             // 0000000061DC: 02E8D974
	v_add_f32_e32 v117, v117, v109                             // 0000000061E0: 02EADB75
	v_add_f32_e32 v118, v118, v110                             // 0000000061E4: 02ECDD76
	v_add_f32_e32 v119, v119, v111                             // 0000000061E8: 02EEDF77
	ds_write_b32 v11, v44 offset:4224                          // 0000000061EC: D81A1080 00002C0B
	s_waitcnt lgkmcnt(0)                                       // 0000000061F4: BF8CC07F
	s_barrier                                                  // 0000000061F8: BF8A0000
	ds_read_b32 v64, v10 offset:4224                           // 0000000061FC: D86C1080 4000000A
	ds_read_b32 v65, v10 offset:4288                           // 000000006204: D86C10C0 4100000A
	ds_read_b32 v66, v10 offset:4352                           // 00000000620C: D86C1100 4200000A
	ds_read_b32 v67, v10 offset:4416                           // 000000006214: D86C1140 4300000A
	ds_read_b32 v68, v10 offset:4480                           // 00000000621C: D86C1180 4400000A
	ds_read_b32 v69, v10 offset:4544                           // 000000006224: D86C11C0 4500000A
	ds_read_b32 v70, v10 offset:4608                           // 00000000622C: D86C1200 4600000A
	ds_read_b32 v71, v10 offset:4672                           // 000000006234: D86C1240 4700000A
	ds_read_b32 v72, v10 offset:4736                           // 00000000623C: D86C1280 4800000A
	ds_read_b32 v73, v10 offset:4800                           // 000000006244: D86C12C0 4900000A
	ds_read_b32 v74, v10 offset:4864                           // 00000000624C: D86C1300 4A00000A
	ds_read_b32 v75, v10 offset:4928                           // 000000006254: D86C1340 4B00000A
	ds_read_b32 v76, v10 offset:4992                           // 00000000625C: D86C1380 4C00000A
	ds_read_b32 v77, v10 offset:5056                           // 000000006264: D86C13C0 4D00000A
	ds_read_b32 v78, v10 offset:5120                           // 00000000626C: D86C1400 4E00000A
	ds_read_b32 v79, v10 offset:5184                           // 000000006274: D86C1440 4F00000A
	s_waitcnt lgkmcnt(0)                                       // 00000000627C: BF8CC07F
	v_mov_b32_e32 v44, 0                                       // 000000006280: 7E580280
	v_add_f32_e32 v44, v64, v44                                // 000000006284: 02585940
	v_add_f32_e32 v44, v65, v44                                // 000000006288: 02585941
	v_add_f32_e32 v44, v66, v44                                // 00000000628C: 02585942
	v_add_f32_e32 v44, v67, v44                                // 000000006290: 02585943
	v_add_f32_e32 v44, v68, v44                                // 000000006294: 02585944
	;; [unrolled: 1-line block ×3, first 2 shown]
	v_add_f32_e32 v44, v70, v44                                // 00000000629C: 02585946
	v_add_f32_e32 v44, v71, v44                                // 0000000062A0: 02585947
	v_add_f32_e32 v44, v72, v44                                // 0000000062A4: 02585948
	v_add_f32_e32 v44, v73, v44                                // 0000000062A8: 02585949
	v_add_f32_e32 v44, v74, v44                                // 0000000062AC: 0258594A
	v_add_f32_e32 v44, v75, v44                                // 0000000062B0: 0258594B
	v_add_f32_e32 v44, v76, v44                                // 0000000062B4: 0258594C
	v_add_f32_e32 v44, v77, v44                                // 0000000062B8: 0258594D
	v_add_f32_e32 v44, v78, v44                                // 0000000062BC: 0258594E
	v_add_f32_e32 v44, v79, v44                                // 0000000062C0: 0258594F
	s_nop 1                                                    // 0000000062C4: BF800001
	v_rcp_f32_e32 v44, v44                                     // 0000000062C8: 7E58452C
	s_nop 1                                                    // 0000000062CC: BF800001
	v_mul_f32_e32 v112, v44, v112                              // 0000000062D0: 0AE0E12C
	v_mul_f32_e32 v113, v44, v113                              // 0000000062D4: 0AE2E32C
	v_mul_f32_e32 v114, v44, v114                              // 0000000062D8: 0AE4E52C
	v_mul_f32_e32 v115, v44, v115                              // 0000000062DC: 0AE6E72C
	v_mul_f32_e32 v116, v44, v116                              // 0000000062E0: 0AE8E92C
	v_mul_f32_e32 v117, v44, v117                              // 0000000062E4: 0AEAEB2C
	v_mul_f32_e32 v118, v44, v118                              // 0000000062E8: 0AECED2C
	v_mul_f32_e32 v119, v44, v119                              // 0000000062EC: 0AEEEF2C
	v_cvt_pkrtz_f16_f32 v38, v112, v113                        // 0000000062F0: D2960026 0002E370
	v_mov_b32_e32 v112, v38                                    // 0000000062F8: 7EE00326
	v_cvt_pkrtz_f16_f32 v38, v114, v115                        // 0000000062FC: D2960026 0002E772
	v_mov_b32_e32 v113, v38                                    // 000000006304: 7EE20326
	v_cvt_pkrtz_f16_f32 v38, v116, v117                        // 000000006308: D2960026 0002EB74
	v_mov_b32_e32 v114, v38                                    // 000000006310: 7EE40326
	v_cvt_pkrtz_f16_f32 v38, v118, v119                        // 000000006314: D2960026 0002EF76
	v_mov_b32_e32 v115, v38                                    // 00000000631C: 7EE60326
	s_nop 1                                                    // 000000006320: BF800001
	v_lshrrev_b32_e32 v38, 4, v0                               // 000000006324: 204C0084
	v_mul_i32_i24_e32 v5, 34, v38                              // 000000006328: 0C0A4CA2
	v_and_b32_e32 v38, 15, v0                                  // 00000000632C: 264C008F
	v_mul_i32_i24_e32 v39, 2, v38                              // 000000006330: 0C4E4C82
	v_add_u32_e32 v5, v39, v5                                  // 000000006334: 680A0B27
	s_mul_i32 s60, s7, 0x88                                    // 000000006338: 923CFF07 00000088
	v_add_u32_e32 v5, s60, v5                                  // 000000006340: 680A0A3C
	v_lshlrev_b32_e32 v5, 2, v5                                // 000000006344: 240A0A82
	ds_write_b64 v5, v[112:113] offset:10368                   // 000000006348: D89A2880 00007005
	ds_write_b64 v5, v[114:115] offset:12544                   // 000000006350: D89A3100 00007205
	v_lshrrev_b32_e32 v38, 1, v0                               // 000000006358: 204C0081
	v_mul_i32_i24_e32 v5, 34, v38                              // 00000000635C: 0C0A4CA2
	v_and_b32_e32 v39, 1, v0                                   // 000000006360: 264E0081
	v_add_u32_e32 v5, v39, v5                                  // 000000006364: 680A0B27
	s_mul_i32 s60, s7, 2                                       // 000000006368: 923C8207
	v_add_u32_e32 v5, s60, v5                                  // 00000000636C: 680A0A3C
	v_lshlrev_b32_e32 v5, 2, v5                                // 000000006370: 240A0A82
	s_waitcnt lgkmcnt(0)                                       // 000000006374: BF8CC07F
	s_barrier                                                  // 000000006378: BF8A0000
	ds_read_b32 v112, v5 offset:10368                          // 00000000637C: D86C2880 70000005
	ds_read_b32 v113, v5 offset:10400                          // 000000006384: D86C28A0 71000005
	ds_read_b32 v114, v5 offset:10432                          // 00000000638C: D86C28C0 72000005
	ds_read_b32 v115, v5 offset:10464                          // 000000006394: D86C28E0 73000005
	s_waitcnt lgkmcnt(0)                                       // 00000000639C: BF8CC07F
	buffer_store_dword v112, v8, s[8:11], 0 offen              // 0000000063A0: E0701000 80027008
	buffer_store_dword v113, v8, s[8:11], 0 offen offset:1024  // 0000000063A8: E0701400 80027108
	buffer_store_dword v114, v8, s[8:11], 0 offen offset:2048  // 0000000063B0: E0701800 80027208
	buffer_store_dword v115, v8, s[8:11], 0 offen offset:3072  // 0000000063B8: E0701C00 80027308
	s_waitcnt vmcnt(0) expcnt(0) lgkmcnt(0)                    // 0000000063C0: BF8C0000
	s_endpgm                                                   // 0000000063C4: BF810000
